;; amdgpu-corpus repo=ROCm/rocFFT kind=compiled arch=gfx950 opt=O3
	.text
	.amdgcn_target "amdgcn-amd-amdhsa--gfx950"
	.amdhsa_code_object_version 6
	.protected	bluestein_single_fwd_len595_dim1_dp_op_CI_CI ; -- Begin function bluestein_single_fwd_len595_dim1_dp_op_CI_CI
	.globl	bluestein_single_fwd_len595_dim1_dp_op_CI_CI
	.p2align	8
	.type	bluestein_single_fwd_len595_dim1_dp_op_CI_CI,@function
bluestein_single_fwd_len595_dim1_dp_op_CI_CI: ; @bluestein_single_fwd_len595_dim1_dp_op_CI_CI
; %bb.0:
	s_load_dwordx4 s[16:19], s[0:1], 0x28
	v_mul_u32_u24_e32 v1, 0xf10, v0
	v_lshrrev_b32_e32 v2, 16, v1
	v_mad_u64_u32 v[16:17], s[2:3], s2, 3, v[2:3]
	v_mov_b32_e32 v207, 0
	v_mov_b32_e32 v17, v207
	s_waitcnt lgkmcnt(0)
	v_cmp_gt_u64_e32 vcc, s[16:17], v[16:17]
	s_and_saveexec_b64 s[2:3], vcc
	s_cbranch_execz .LBB0_10
; %bb.1:
	s_load_dwordx4 s[4:7], s[0:1], 0x18
	s_load_dwordx4 s[8:11], s[0:1], 0x0
	v_mul_lo_u16_e32 v1, 17, v2
	v_sub_u16_e32 v206, v0, v1
	v_mov_b32_e32 v4, s18
	s_waitcnt lgkmcnt(0)
	s_load_dwordx4 s[12:15], s[4:5], 0x0
	v_mov_b32_e32 v5, s19
	v_mov_b32_e32 v18, 0x550
	v_lshlrev_b32_e32 v8, 4, v206
	global_load_dwordx4 v[60:63], v8, s[8:9]
	s_waitcnt lgkmcnt(0)
	v_mad_u64_u32 v[0:1], s[2:3], s14, v16, 0
	v_mov_b32_e32 v2, v1
	v_mad_u64_u32 v[2:3], s[2:3], s15, v16, v[2:3]
	v_mov_b32_e32 v1, v2
	;; [unrolled: 2-line block ×4, first 2 shown]
	v_lshl_add_u64 v[10:11], v[0:1], 4, v[4:5]
	v_lshl_add_u64 v[4:5], v[2:3], 4, v[10:11]
	v_mad_u64_u32 v[12:13], s[2:3], s12, v18, v[4:5]
	global_load_dwordx4 v[0:3], v[4:5], off
	s_mul_i32 s2, s13, 0x550
	v_add_u32_e32 v13, s2, v13
	global_load_dwordx4 v[56:59], v8, s[8:9] offset:1360
	global_load_dwordx4 v[4:7], v[12:13], off
	v_mad_u64_u32 v[12:13], s[14:15], s12, v18, v[12:13]
	s_mov_b32 s4, 0xaaaaaaab
	v_add_u32_e32 v13, s2, v13
	v_mul_hi_u32 v14, v16, s4
	s_load_dwordx4 s[4:7], s[6:7], 0x0
	global_load_dwordx4 v[88:91], v8, s[8:9] offset:4080
	global_load_dwordx4 v[76:79], v8, s[8:9] offset:272
	;; [unrolled: 1-line block ×6, first 2 shown]
	global_load_dwordx4 v[20:23], v[12:13], off
	v_lshrrev_b32_e32 v14, 1, v14
	v_lshl_add_u32 v14, v14, 1, v14
	v_mov_b32_e32 v9, v207
	v_sub_u32_e32 v14, v16, v14
	v_mad_u64_u32 v[12:13], s[14:15], s12, v18, v[12:13]
	s_movk_i32 s3, 0x1000
	v_accvgpr_write_b32 a46, v16
	v_mul_u32_u24_e32 v16, 0x253, v14
	v_lshl_add_u64 v[14:15], s[8:9], 0, v[8:9]
	v_add_u32_e32 v13, s2, v13
	v_lshlrev_b32_e32 v223, 4, v16
	v_add_co_u32_e32 v16, vcc, s3, v14
	v_mad_u64_u32 v[32:33], s[14:15], s12, v18, v[12:13]
	s_nop 0
	v_addc_co_u32_e32 v17, vcc, 0, v15, vcc
	v_add_u32_e32 v33, s2, v33
	global_load_dwordx4 v[128:131], v[16:17], off offset:2704
	global_load_dwordx4 v[112:115], v[16:17], off offset:4064
	global_load_dwordx4 v[24:27], v[12:13], off
	global_load_dwordx4 v[28:31], v[32:33], off
	v_mad_u64_u32 v[12:13], s[14:15], s12, v18, v[32:33]
	v_add_u32_e32 v13, s2, v13
	global_load_dwordx4 v[32:35], v[12:13], off
	v_mad_u64_u32 v[12:13], s[14:15], s12, v18, v[12:13]
	v_mov_b32_e32 v19, 0xffffe130
	s_mul_i32 s3, s13, 0xffffe130
	v_add_u32_e32 v13, s2, v13
	global_load_dwordx4 v[140:143], v[16:17], off offset:1344
	global_load_dwordx4 v[36:39], v[12:13], off
	s_sub_i32 s3, s3, s12
	v_mad_u64_u32 v[12:13], s[14:15], s12, v19, v[12:13]
	v_add_u32_e32 v13, s3, v13
	global_load_dwordx4 v[40:43], v[12:13], off
	v_mad_u64_u32 v[12:13], s[14:15], s12, v18, v[12:13]
	v_add_u32_e32 v13, s2, v13
	global_load_dwordx4 v[44:47], v[12:13], off
	v_mad_u64_u32 v[12:13], s[14:15], s12, v18, v[12:13]
	v_add_u32_e32 v13, s2, v13
	v_add_u32_e32 v222, v8, v223
	global_load_dwordx4 v[48:51], v[12:13], off
	v_or_b32_e32 v9, 0x220, v206
	s_mov_b32 s24, 0xaaaaaaaa
	s_mov_b32 s25, 0xbff2aaaa
	s_mov_b32 s28, 0xe976ee23
	s_mov_b32 s29, 0xbfe11646
	s_mov_b32 s26, 0x5476071b
	s_waitcnt vmcnt(20)
	scratch_store_dwordx4 off, v[60:63], off offset:560 ; 16-byte Folded Spill
	s_mov_b32 s27, 0x3fe77f67
	s_mov_b32 s18, 0x37e14327
	;; [unrolled: 1-line block ×9, first 2 shown]
	v_lshl_add_u64 v[214:215], v[206:207], 0, 17
	v_lshl_add_u64 v[250:251], v[206:207], 0, 34
	s_waitcnt vmcnt(20)
	v_mul_f64 v[52:53], v[2:3], v[62:63]
	v_mul_f64 v[54:55], v[0:1], v[62:63]
	v_fmac_f64_e32 v[52:53], v[0:1], v[60:61]
	v_fma_f64 v[54:55], v[2:3], v[60:61], -v[54:55]
	s_waitcnt vmcnt(18)
	v_mul_f64 v[2:3], v[6:7], v[58:59]
	v_mul_f64 v[0:1], v[4:5], v[58:59]
	v_fmac_f64_e32 v[2:3], v[4:5], v[56:57]
	v_fma_f64 v[4:5], v[6:7], v[56:57], -v[0:1]
	v_mad_u64_u32 v[0:1], s[14:15], s12, v18, v[12:13]
	ds_write_b128 v222, v[52:55]
	scratch_store_dwordx4 off, v[56:59], off offset:192 ; 16-byte Folded Spill
	v_add_u32_e32 v1, s2, v1
	global_load_dwordx4 v[52:55], v[0:1], off
	global_load_dwordx4 v[136:139], v[16:17], off offset:256
	v_mad_u64_u32 v[0:1], s[14:15], s12, v18, v[0:1]
	v_add_u32_e32 v1, s2, v1
	global_load_dwordx4 v[56:59], v[0:1], off
	global_load_dwordx4 v[132:135], v[16:17], off offset:1616
	v_mad_u64_u32 v[0:1], s[14:15], s12, v18, v[0:1]
	v_add_u32_e32 v1, s2, v1
	v_mad_u64_u32 v[6:7], s[14:15], s12, v18, v[0:1]
	s_movk_i32 s14, 0x2000
	global_load_dwordx4 v[60:63], v[0:1], off
	global_load_dwordx4 v[124:127], v[16:17], off offset:2976
	v_add_u32_e32 v7, s2, v7
	v_add_co_u32_e32 v0, vcc, s14, v14
	global_load_dwordx4 v[64:67], v[6:7], off
	s_nop 0
	v_addc_co_u32_e32 v1, vcc, 0, v15, vcc
	v_mad_u64_u32 v[6:7], s[14:15], s12, v19, v[6:7]
	global_load_dwordx4 v[120:123], v[0:1], off offset:240
	ds_write_b128 v222, v[2:5] offset:1360
	v_add_u32_e32 v7, s3, v7
	global_load_dwordx4 v[2:5], v[6:7], off
	global_load_dwordx4 v[116:119], v8, s[8:9] offset:544
	v_mad_u64_u32 v[6:7], s[14:15], s12, v18, v[6:7]
	s_waitcnt vmcnt(22)
	v_mul_f64 v[68:69], v[22:23], v[72:73]
	v_add_u32_e32 v7, s2, v7
	v_fmac_f64_e32 v[68:69], v[20:21], v[70:71]
	v_mul_f64 v[20:21], v[20:21], v[72:73]
	global_load_dwordx4 v[12:15], v[6:7], off
	global_load_dwordx4 v[108:111], v8, s[8:9] offset:1904
	v_mad_u64_u32 v[6:7], s[14:15], s12, v18, v[6:7]
	scratch_store_dwordx4 off, v[70:73], off offset:336 ; 16-byte Folded Spill
	v_add_u32_e32 v7, s2, v7
	v_cmp_eq_u16_e32 vcc, 0, v206
	v_fma_f64 v[70:71], v[22:23], v[70:71], -v[20:21]
	ds_write_b128 v222, v[68:71] offset:2720
	global_load_dwordx4 v[20:23], v[6:7], off
	global_load_dwordx4 v[104:107], v8, s[8:9] offset:3264
	v_mad_u64_u32 v[6:7], s[14:15], s12, v18, v[6:7]
	v_add_u32_e32 v7, s2, v7
	global_load_dwordx4 v[68:71], v[6:7], off
	global_load_dwordx4 v[100:103], v[16:17], off offset:528
	global_load_dwordx4 v[96:99], v8, s[8:9] offset:3808
	s_waitcnt vmcnt(27)
	v_mul_f64 v[72:73], v[26:27], v[90:91]
	v_fmac_f64_e32 v[72:73], v[24:25], v[88:89]
	v_mul_f64 v[24:25], v[24:25], v[90:91]
	v_fma_f64 v[74:75], v[26:27], v[88:89], -v[24:25]
	s_waitcnt vmcnt(24)
	v_mul_f64 v[24:25], v[30:31], v[142:143]
	v_mul_f64 v[26:27], v[28:29], v[142:143]
	v_fmac_f64_e32 v[24:25], v[28:29], v[140:141]
	v_fma_f64 v[26:27], v[30:31], v[140:141], -v[26:27]
	ds_write_b128 v222, v[24:27] offset:5440
	v_mul_f64 v[24:25], v[34:35], v[130:131]
	v_mul_f64 v[26:27], v[32:33], v[130:131]
	v_fmac_f64_e32 v[24:25], v[32:33], v[128:129]
	v_fma_f64 v[26:27], v[34:35], v[128:129], -v[26:27]
	ds_write_b128 v222, v[24:27] offset:6800
	s_waitcnt vmcnt(23)
	v_mul_f64 v[24:25], v[38:39], v[114:115]
	v_mul_f64 v[26:27], v[36:37], v[114:115]
	v_fmac_f64_e32 v[24:25], v[36:37], v[112:113]
	v_fma_f64 v[26:27], v[38:39], v[112:113], -v[26:27]
	ds_write_b128 v222, v[24:27] offset:8160
	s_waitcnt vmcnt(22)
	;; [unrolled: 6-line block ×4, first 2 shown]
	v_mul_f64 v[24:25], v[50:51], v[86:87]
	v_mul_f64 v[26:27], v[48:49], v[86:87]
	v_fmac_f64_e32 v[24:25], v[48:49], v[84:85]
	v_fma_f64 v[26:27], v[50:51], v[84:85], -v[26:27]
	ds_write_b128 v222, v[24:27] offset:2992
	v_mad_u64_u32 v[6:7], s[14:15], s12, v18, v[6:7]
	scratch_store_dwordx4 off, v[88:91], off offset:416 ; 16-byte Folded Spill
	s_waitcnt vmcnt(17)
	v_mul_f64 v[24:25], v[54:55], v[138:139]
	v_mul_f64 v[26:27], v[52:53], v[138:139]
	v_fmac_f64_e32 v[24:25], v[52:53], v[136:137]
	v_fma_f64 v[26:27], v[54:55], v[136:137], -v[26:27]
	ds_write_b128 v222, v[24:27] offset:4352
	s_waitcnt vmcnt(15)
	v_mul_f64 v[24:25], v[58:59], v[134:135]
	v_mul_f64 v[26:27], v[56:57], v[134:135]
	v_fmac_f64_e32 v[24:25], v[56:57], v[132:133]
	v_fma_f64 v[26:27], v[58:59], v[132:133], -v[26:27]
	ds_write_b128 v222, v[24:27] offset:5712
	ds_write_b128 v222, v[72:75] offset:4080
	s_waitcnt vmcnt(13)
	v_mul_f64 v[24:25], v[62:63], v[126:127]
	v_mul_f64 v[26:27], v[60:61], v[126:127]
	v_fmac_f64_e32 v[24:25], v[60:61], v[124:125]
	v_fma_f64 v[26:27], v[62:63], v[124:125], -v[26:27]
	ds_write_b128 v222, v[24:27] offset:7072
	scratch_store_dwordx4 off, v[140:143], off offset:384 ; 16-byte Folded Spill
	scratch_store_dwordx4 off, v[128:131], off offset:400 ; 16-byte Folded Spill
	;; [unrolled: 1-line block ×4, first 2 shown]
	s_waitcnt vmcnt(15)
	v_mul_f64 v[24:25], v[66:67], v[122:123]
	v_mul_f64 v[26:27], v[64:65], v[122:123]
	v_fmac_f64_e32 v[24:25], v[64:65], v[120:121]
	v_fma_f64 v[26:27], v[66:67], v[120:121], -v[26:27]
	ds_write_b128 v222, v[24:27] offset:8432
	s_waitcnt vmcnt(13)
	v_mul_f64 v[24:25], v[4:5], v[118:119]
	v_fmac_f64_e32 v[24:25], v[2:3], v[116:117]
	v_mul_f64 v[2:3], v[2:3], v[118:119]
	v_fma_f64 v[26:27], v[4:5], v[116:117], -v[2:3]
	scratch_store_dwordx4 off, v[80:83], off offset:288 ; 16-byte Folded Spill
	s_waitcnt vmcnt(12)
	v_mul_f64 v[2:3], v[14:15], v[110:111]
	v_mul_f64 v[4:5], v[12:13], v[110:111]
	v_fmac_f64_e32 v[2:3], v[12:13], v[108:109]
	v_fma_f64 v[4:5], v[14:15], v[108:109], -v[4:5]
	scratch_store_dwordx4 off, v[84:87], off offset:256 ; 16-byte Folded Spill
	scratch_store_dwordx4 off, v[136:139], off offset:208 ; 16-byte Folded Spill
	;; [unrolled: 1-line block ×4, first 2 shown]
	s_waitcnt vmcnt(13)
	v_mul_f64 v[12:13], v[22:23], v[106:107]
	v_mul_f64 v[14:15], v[20:21], v[106:107]
	scratch_store_dwordx4 off, v[120:123], off offset:92 ; 16-byte Folded Spill
	scratch_store_dwordx4 off, v[116:119], off offset:68 ; 16-byte Folded Spill
	ds_write_b128 v222, v[24:27] offset:544
	scratch_store_dwordx4 off, v[108:111], off offset:52 ; 16-byte Folded Spill
	ds_write_b128 v222, v[2:5] offset:1904
	v_add_u32_e32 v7, s2, v7
	v_fmac_f64_e32 v[12:13], v[20:21], v[104:105]
	v_fma_f64 v[14:15], v[22:23], v[104:105], -v[14:15]
	global_load_dwordx4 v[88:91], v[16:17], off offset:2432
	global_load_dwordx4 v[120:123], v8, s[8:9] offset:816
	global_load_dwordx4 v[128:131], v[16:17], off offset:3248
	global_load_dwordx4 v[2:5], v[6:7], off
	global_load_dwordx4 v[112:115], v8, s[8:9] offset:3536
	global_load_dwordx4 v[140:143], v[16:17], off offset:1888
	ds_write_b128 v222, v[12:15] offset:3264
	v_mad_u64_u32 v[14:15], s[14:15], s12, v9, 0
	v_mad_u64_u32 v[6:7], s[14:15], s12, v18, v[6:7]
	v_mov_b32_e32 v24, v15
	v_add_u32_e32 v7, s2, v7
	v_mad_u64_u32 v[24:25], s[14:15], s13, v9, v[24:25]
	global_load_dwordx4 v[20:23], v[6:7], off
	v_mov_b32_e32 v15, v24
	scratch_store_dword off, v9, off        ; 4-byte Folded Spill
	v_lshlrev_b32_e32 v9, 4, v9
	v_lshl_add_u64 v[10:11], v[14:15], 4, v[10:11]
	v_accvgpr_write_b32 a47, v9
	global_load_dwordx4 v[136:139], v9, s[8:9]
	v_mov_b32_e32 v9, 0xffffe680
	s_mulk_i32 s13, 0xe680
	global_load_dwordx4 v[24:27], v[10:11], off
	v_mad_u64_u32 v[6:7], s[14:15], s12, v9, v[6:7]
	s_sub_i32 s13, s13, s12
	v_add_u32_e32 v7, s13, v7
	global_load_dwordx4 v[28:31], v[6:7], off
	v_mad_u64_u32 v[6:7], s[14:15], s12, v18, v[6:7]
	scratch_store_dwordx4 off, v[104:107], off offset:20 ; 16-byte Folded Spill
	v_add_u32_e32 v7, s2, v7
	global_load_dwordx4 v[32:35], v[6:7], off
	global_load_dwordx4 v[132:135], v8, s[8:9] offset:2176
	v_mad_u64_u32 v[6:7], s[14:15], s12, v18, v[6:7]
	v_add_u32_e32 v7, s2, v7
	global_load_dwordx4 v[36:39], v[6:7], off
	v_mad_u64_u32 v[6:7], s[14:15], s12, v18, v[6:7]
	v_add_u32_e32 v7, s2, v7
	global_load_dwordx4 v[40:43], v[6:7], off
	global_load_dwordx4 v[124:127], v[16:17], off offset:800
	v_mad_u64_u32 v[6:7], s[14:15], s12, v18, v[6:7]
	v_add_u32_e32 v7, s2, v7
	global_load_dwordx4 v[44:47], v[6:7], off
	global_load_dwordx4 v[116:119], v[16:17], off offset:2160
	;; [unrolled: 4-line block ×4, first 2 shown]
	v_mad_u64_u32 v[6:7], s[14:15], s12, v19, v[6:7]
	v_add_u32_e32 v7, s3, v7
	global_load_dwordx4 v[56:59], v[6:7], off
	v_mad_u64_u32 v[6:7], s[14:15], s12, v18, v[6:7]
	s_waitcnt vmcnt(38)
	v_mul_f64 v[12:13], v[70:71], v[102:103]
	v_mul_f64 v[10:11], v[68:69], v[102:103]
	scratch_store_dwordx4 off, v[100:103], off offset:320 ; 16-byte Folded Spill
	v_add_u32_e32 v7, s2, v7
	v_fmac_f64_e32 v[12:13], v[68:69], v[100:101]
	v_fma_f64 v[14:15], v[70:71], v[100:101], -v[10:11]
	global_load_dwordx4 v[60:63], v[6:7], off
	global_load_dwordx4 v[100:103], v8, s[8:9] offset:2448
	v_mad_u64_u32 v[10:11], s[14:15], s12, v18, v[6:7]
	v_add_u32_e32 v11, s2, v11
	global_load_dwordx4 v[6:9], v[10:11], off
	v_mad_u64_u32 v[64:65], s[14:15], s12, v18, v[10:11]
	ds_write_b128 v222, v[12:15] offset:4624
	v_add_u32_e32 v65, s2, v65
	global_load_dwordx4 v[10:13], v[64:65], off
	global_load_dwordx4 v[76:79], v[16:17], off offset:1072
	v_mad_u64_u32 v[68:69], s[14:15], s12, v18, v[64:65]
	v_add_u32_e32 v69, s2, v69
	global_load_dwordx4 v[64:67], v[68:69], off
	v_mad_u64_u32 v[72:73], s[14:15], s12, v18, v[68:69]
	v_add_u32_e32 v73, s2, v73
	global_load_dwordx4 v[68:71], v[72:73], off
	global_load_dwordx4 v[80:83], v[16:17], off offset:3792
	v_mad_u64_u32 v[16:17], s[12:13], s12, v18, v[72:73]
	v_add_u32_e32 v17, s2, v17
	global_load_dwordx4 v[72:75], v[16:17], off
	global_load_dwordx4 v[84:87], v[0:1], off offset:1056
	s_waitcnt vmcnt(29)
	v_mul_f64 v[14:15], v[4:5], v[142:143]
	v_mul_f64 v[0:1], v[2:3], v[142:143]
	v_fmac_f64_e32 v[14:15], v[2:3], v[140:141]
	v_fma_f64 v[16:17], v[4:5], v[140:141], -v[0:1]
	scratch_store_dwordx4 off, v[140:143], off offset:544 ; 16-byte Folded Spill
	ds_write_b128 v222, v[14:17] offset:5984
	s_waitcnt vmcnt(29)
	v_mul_f64 v[0:1], v[22:23], v[130:131]
	v_mul_f64 v[2:3], v[20:21], v[130:131]
	v_fmac_f64_e32 v[0:1], v[20:21], v[128:129]
	v_fma_f64 v[2:3], v[22:23], v[128:129], -v[2:3]
	ds_write_b128 v222, v[0:3] offset:7344
	scratch_store_dwordx4 off, v[128:131], off offset:528 ; 16-byte Folded Spill
	s_waitcnt vmcnt(28)
	scratch_store_dwordx4 off, v[136:139], off offset:512 ; 16-byte Folded Spill
	scratch_store_dwordx4 off, v[120:123], off offset:496 ; 16-byte Folded Spill
	;; [unrolled: 1-line block ×3, first 2 shown]
	s_waitcnt vmcnt(30)
	v_mul_f64 v[0:1], v[26:27], v[138:139]
	v_mul_f64 v[2:3], v[24:25], v[138:139]
	v_fmac_f64_e32 v[0:1], v[24:25], v[136:137]
	v_fma_f64 v[2:3], v[26:27], v[136:137], -v[2:3]
	ds_write_b128 v222, v[0:3] offset:8704
	s_waitcnt vmcnt(29)
	v_mul_f64 v[0:1], v[30:31], v[122:123]
	v_mul_f64 v[2:3], v[28:29], v[122:123]
	v_fmac_f64_e32 v[0:1], v[28:29], v[120:121]
	v_fma_f64 v[2:3], v[30:31], v[120:121], -v[2:3]
	ds_write_b128 v222, v[0:3] offset:816
	;; [unrolled: 6-line block ×14, first 2 shown]
	s_waitcnt vmcnt(5)
	v_mul_f64 v[0:1], v[74:75], v[86:87]
	v_mul_f64 v[2:3], v[72:73], v[86:87]
	v_fmac_f64_e32 v[0:1], v[72:73], v[84:85]
	v_fma_f64 v[2:3], v[74:75], v[84:85], -v[2:3]
	scratch_store_dwordx4 off, v[132:135], off offset:480 ; 16-byte Folded Spill
	scratch_store_dwordx4 off, v[124:127], off offset:448 ; 16-byte Folded Spill
	;; [unrolled: 1-line block ×12, first 2 shown]
	ds_write_b128 v222, v[0:3] offset:9248
	s_waitcnt lgkmcnt(0)
	; wave barrier
	s_waitcnt lgkmcnt(0)
	ds_read_b128 v[72:75], v222 offset:2720
	ds_read_b128 v[36:39], v222 offset:2992
	;; [unrolled: 1-line block ×24, first 2 shown]
	s_waitcnt lgkmcnt(13)
	v_add_f64 v[110:111], v[36:37], v[68:69]
	v_add_f64 v[108:109], v[38:39], v[70:71]
	v_add_f64 v[68:69], v[36:37], -v[68:69]
	v_add_f64 v[36:37], v[38:39], -v[70:71]
	s_waitcnt lgkmcnt(7)
	v_add_f64 v[70:71], v[20:21], v[52:53]
	v_add_f64 v[112:113], v[22:23], v[54:55]
	v_add_f64 v[114:115], v[20:21], -v[52:53]
	v_add_f64 v[116:117], v[22:23], -v[54:55]
	v_add_f64 v[118:119], v[24:25], v[44:45]
	v_add_f64 v[120:121], v[26:27], v[46:47]
	v_add_f64 v[122:123], v[44:45], -v[24:25]
	v_add_f64 v[124:125], v[46:47], -v[26:27]
	ds_read_b128 v[20:23], v222 offset:2176
	ds_read_b128 v[24:27], v222 offset:2448
	s_waitcnt lgkmcnt(7)
	v_add_f64 v[80:81], v[88:89], v[84:85]
	v_add_f64 v[82:83], v[90:91], v[86:87]
	v_add_f64 v[84:85], v[88:89], -v[84:85]
	v_add_f64 v[86:87], v[90:91], -v[86:87]
	s_waitcnt lgkmcnt(3)
	v_add_f64 v[94:95], v[72:73], v[100:101]
	v_add_f64 v[92:93], v[74:75], v[102:103]
	v_add_f64 v[90:91], v[72:73], -v[100:101]
	v_add_f64 v[88:89], v[74:75], -v[102:103]
	v_add_f64 v[132:133], v[32:33], v[28:29]
	v_add_f64 v[130:131], v[34:35], v[30:31]
	v_add_f64 v[128:129], v[32:33], -v[28:29]
	v_add_f64 v[126:127], v[34:35], -v[30:31]
	s_waitcnt lgkmcnt(1)
	v_add_f64 v[100:101], v[20:21], v[40:41]
	v_add_f64 v[102:103], v[22:23], v[42:43]
	v_add_f64 v[104:105], v[20:21], -v[40:41]
	v_add_f64 v[106:107], v[22:23], -v[42:43]
	ds_read_b128 v[20:23], v222 offset:7616
	ds_read_b128 v[28:31], v222 offset:7888
	v_add_f64 v[72:73], v[96:97], v[76:77]
	v_add_f64 v[74:75], v[98:99], v[78:79]
	v_add_f64 v[76:77], v[76:77], -v[96:97]
	s_waitcnt lgkmcnt(1)
	v_add_f64 v[164:165], v[16:17], v[20:21]
	v_add_f64 v[162:163], v[18:19], v[22:23]
	v_add_f64 v[160:161], v[16:17], -v[20:21]
	v_add_f64 v[158:159], v[18:19], -v[22:23]
	ds_read_b128 v[16:19], v222 offset:4896
	ds_read_b128 v[20:23], v222 offset:5168
	s_waitcnt lgkmcnt(2)
	v_add_f64 v[172:173], v[4:5], v[28:29]
	v_add_f64 v[168:169], v[4:5], -v[28:29]
	v_add_f64 v[4:5], v[94:95], v[80:81]
	s_waitcnt lgkmcnt(1)
	v_add_f64 v[150:151], v[16:17], v[12:13]
	s_waitcnt lgkmcnt(0)
	v_add_f64 v[142:143], v[20:21], v[8:9]
	v_add_f64 v[146:147], v[8:9], -v[20:21]
	v_add_f64 v[8:9], v[72:73], v[4:5]
	v_add_f64 v[4:5], v[92:93], v[82:83]
	v_add_f64 v[152:153], v[18:19], v[14:15]
	v_add_f64 v[154:155], v[12:13], -v[16:17]
	v_add_f64 v[156:157], v[14:15], -v[18:19]
	ds_read_b128 v[12:15], v222 offset:9248
	v_add_f64 v[170:171], v[6:7], v[30:31]
	v_add_f64 v[166:167], v[6:7], -v[30:31]
	v_add_f64 v[144:145], v[22:23], v[10:11]
	v_add_f64 v[148:149], v[10:11], -v[22:23]
	v_add_f64 v[10:11], v[74:75], v[4:5]
	ds_read_b128 v[4:7], v222
	ds_read_b128 v[20:23], v222 offset:272
	v_add_f64 v[78:79], v[78:79], -v[98:99]
	s_waitcnt lgkmcnt(2)
	v_add_f64 v[134:135], v[24:25], v[12:13]
	v_add_f64 v[136:137], v[26:27], v[14:15]
	s_waitcnt lgkmcnt(1)
	v_add_f64 v[4:5], v[4:5], v[8:9]
	v_add_f64 v[6:7], v[6:7], v[10:11]
	v_add_f64 v[138:139], v[24:25], -v[12:13]
	v_add_f64 v[140:141], v[26:27], -v[14:15]
	v_mov_b64_e32 v[24:25], v[4:5]
	v_mov_b64_e32 v[26:27], v[6:7]
	s_mov_b32 s2, 0x36b3c0b5
	v_fmac_f64_e32 v[24:25], s[24:25], v[8:9]
	v_fmac_f64_e32 v[26:27], s[24:25], v[10:11]
	v_add_f64 v[28:29], v[72:73], -v[94:95]
	v_add_f64 v[30:31], v[74:75], -v[92:93]
	v_add_f64 v[8:9], v[76:77], v[90:91]
	v_add_f64 v[10:11], v[76:77], -v[90:91]
	v_add_f64 v[14:15], v[78:79], -v[88:89]
	s_mov_b32 s3, 0x3fac98ee
	s_mov_b32 s14, 0x429ad128
	v_add_f64 v[16:17], v[94:95], -v[80:81]
	v_add_f64 v[18:19], v[92:93], -v[82:83]
	;; [unrolled: 1-line block ×3, first 2 shown]
	v_add_f64 v[12:13], v[78:79], v[88:89]
	v_add_f64 v[34:35], v[88:89], -v[86:87]
	v_add_f64 v[38:39], v[8:9], v[84:85]
	v_mul_f64 v[42:43], v[10:11], s[28:29]
	v_mul_f64 v[44:45], v[14:15], s[28:29]
	s_mov_b32 s15, 0x3febfeb5
	v_mul_f64 v[8:9], v[28:29], s[2:3]
	v_mul_f64 v[10:11], v[30:31], s[2:3]
	s_mov_b32 s12, 0x37c3f68c
	v_add_f64 v[40:41], v[12:13], v[86:87]
	v_fma_f64 v[8:9], v[16:17], s[26:27], -v[8:9]
	v_fma_f64 v[10:11], v[18:19], s[26:27], -v[10:11]
	s_mov_b32 s13, 0x3fdc38aa
	v_fma_f64 v[46:47], v[32:33], s[14:15], -v[42:43]
	v_fma_f64 v[52:53], v[34:35], s[14:15], -v[44:45]
	v_add_f64 v[8:9], v[8:9], v[24:25]
	v_add_f64 v[10:11], v[10:11], v[26:27]
	v_fmac_f64_e32 v[46:47], s[12:13], v[38:39]
	v_fmac_f64_e32 v[52:53], s[12:13], v[40:41]
	v_add_f64 v[12:13], v[8:9], -v[52:53]
	v_add_f64 v[14:15], v[46:47], v[10:11]
	v_add_f64 v[8:9], v[8:9], v[52:53]
	v_add_f64 v[10:11], v[10:11], -v[46:47]
	v_add_f64 v[46:47], v[80:81], -v[72:73]
	;; [unrolled: 1-line block ×3, first 2 shown]
	v_add_f64 v[96:97], v[60:61], v[56:57]
	v_add_f64 v[98:99], v[62:63], v[58:59]
	v_mul_f64 v[46:47], v[46:47], s[18:19]
	v_mul_f64 v[52:53], v[52:53], s[18:19]
	v_add_f64 v[56:57], v[60:61], -v[56:57]
	v_add_f64 v[58:59], v[62:63], -v[58:59]
	v_add_f64 v[60:61], v[64:65], v[48:49]
	v_add_f64 v[62:63], v[66:67], v[50:51]
	v_add_f64 v[48:49], v[48:49], -v[64:65]
	v_add_f64 v[64:65], v[86:87], -v[78:79]
	v_fma_f64 v[16:17], v[16:17], s[20:21], -v[46:47]
	v_fma_f64 v[18:19], v[18:19], s[20:21], -v[52:53]
	v_fmac_f64_e32 v[46:47], s[2:3], v[28:29]
	v_fmac_f64_e32 v[52:53], s[2:3], v[30:31]
	v_add_f64 v[28:29], v[110:111], v[96:97]
	v_add_f64 v[30:31], v[108:109], v[98:99]
	v_mul_f64 v[34:35], v[34:35], s[14:15]
	v_fmac_f64_e32 v[44:45], s[16:17], v[64:65]
	v_add_f64 v[28:29], v[60:61], v[28:29]
	v_add_f64 v[30:31], v[62:63], v[30:31]
	v_add_f64 v[54:55], v[84:85], -v[76:77]
	v_mul_f64 v[32:33], v[32:33], s[14:15]
	v_fma_f64 v[72:73], v[64:65], s[22:23], -v[34:35]
	v_add_f64 v[16:17], v[16:17], v[24:25]
	v_add_f64 v[24:25], v[46:47], v[24:25]
	v_fmac_f64_e32 v[44:45], s[12:13], v[40:41]
	s_waitcnt lgkmcnt(0)
	v_add_f64 v[20:21], v[20:21], v[28:29]
	v_add_f64 v[22:23], v[22:23], v[30:31]
	v_add_f64 v[50:51], v[50:51], -v[66:67]
	v_fma_f64 v[66:67], v[54:55], s[22:23], -v[32:33]
	v_add_f64 v[18:19], v[18:19], v[26:27]
	v_fmac_f64_e32 v[72:73], s[12:13], v[40:41]
	v_add_f64 v[26:27], v[52:53], v[26:27]
	v_add_f64 v[52:53], v[24:25], v[44:45]
	v_add_f64 v[24:25], v[24:25], -v[44:45]
	v_mov_b64_e32 v[44:45], v[20:21]
	v_mov_b64_e32 v[46:47], v[22:23]
	v_fmac_f64_e32 v[66:67], s[12:13], v[38:39]
	v_add_f64 v[32:33], v[16:17], v[72:73]
	v_add_f64 v[16:17], v[16:17], -v[72:73]
	v_fmac_f64_e32 v[42:43], s[16:17], v[54:55]
	v_fmac_f64_e32 v[44:45], s[24:25], v[28:29]
	;; [unrolled: 1-line block ×3, first 2 shown]
	v_add_f64 v[72:73], v[60:61], -v[110:111]
	v_add_f64 v[28:29], v[48:49], v[68:69]
	v_add_f64 v[30:31], v[48:49], -v[68:69]
	v_add_f64 v[64:65], v[68:69], -v[56:57]
	v_add_f64 v[60:61], v[96:97], -v[60:61]
	v_add_f64 v[34:35], v[18:19], -v[66:67]
	v_add_f64 v[18:19], v[66:67], v[18:19]
	v_fmac_f64_e32 v[42:43], s[12:13], v[38:39]
	v_add_f64 v[40:41], v[110:111], -v[96:97]
	v_add_f64 v[74:75], v[62:63], -v[108:109]
	v_add_f64 v[38:39], v[50:51], v[36:37]
	v_add_f64 v[66:67], v[50:51], -v[36:37]
	v_add_f64 v[76:77], v[28:29], v[56:57]
	v_mul_f64 v[84:85], v[30:31], s[28:29]
	v_mul_f64 v[28:29], v[72:73], s[2:3]
	v_add_f64 v[62:63], v[98:99], -v[62:63]
	v_add_f64 v[48:49], v[56:57], -v[48:49]
	v_mul_f64 v[56:57], v[60:61], s[18:19]
	v_mul_f64 v[60:61], v[64:65], s[14:15]
	v_add_f64 v[54:55], v[26:27], -v[42:43]
	v_add_f64 v[26:27], v[42:43], v[26:27]
	v_add_f64 v[42:43], v[108:109], -v[98:99]
	v_add_f64 v[68:69], v[36:37], -v[58:59]
	v_add_f64 v[78:79], v[38:39], v[58:59]
	v_mul_f64 v[86:87], v[66:67], s[28:29]
	v_fma_f64 v[28:29], v[40:41], s[26:27], -v[28:29]
	v_mul_f64 v[30:31], v[74:75], s[2:3]
	v_fma_f64 v[66:67], v[64:65], s[14:15], -v[84:85]
	v_add_f64 v[50:51], v[58:59], -v[50:51]
	v_mul_f64 v[58:59], v[62:63], s[18:19]
	v_fma_f64 v[40:41], v[40:41], s[20:21], -v[56:57]
	v_fma_f64 v[60:61], v[48:49], s[22:23], -v[60:61]
	v_fmac_f64_e32 v[56:57], s[2:3], v[72:73]
	v_fmac_f64_e32 v[84:85], s[16:17], v[48:49]
	v_add_f64 v[48:49], v[132:133], v[70:71]
	v_fma_f64 v[30:31], v[42:43], s[26:27], -v[30:31]
	v_add_f64 v[28:29], v[28:29], v[44:45]
	v_mul_f64 v[62:63], v[68:69], s[14:15]
	v_fma_f64 v[42:43], v[42:43], s[20:21], -v[58:59]
	v_add_f64 v[40:41], v[40:41], v[44:45]
	v_fmac_f64_e32 v[58:59], s[2:3], v[74:75]
	v_add_f64 v[44:45], v[56:57], v[44:45]
	v_add_f64 v[56:57], v[118:119], v[48:49]
	;; [unrolled: 1-line block ×4, first 2 shown]
	v_fma_f64 v[80:81], v[68:69], s[14:15], -v[86:87]
	v_fma_f64 v[62:63], v[50:51], s[22:23], -v[62:63]
	v_add_f64 v[42:43], v[42:43], v[46:47]
	v_fmac_f64_e32 v[86:87], s[16:17], v[50:51]
	v_add_f64 v[46:47], v[58:59], v[46:47]
	v_add_f64 v[58:59], v[120:121], v[48:49]
	ds_read_b128 v[48:51], v222 offset:544
	ds_read_b128 v[72:75], v222 offset:816
	v_fmac_f64_e32 v[80:81], s[12:13], v[78:79]
	v_fmac_f64_e32 v[62:63], s[12:13], v[78:79]
	;; [unrolled: 1-line block ×3, first 2 shown]
	s_waitcnt lgkmcnt(1)
	v_add_f64 v[50:51], v[50:51], v[58:59]
	v_add_f64 v[48:49], v[48:49], v[56:57]
	v_mov_b64_e32 v[78:79], v[50:51]
	v_fmac_f64_e32 v[66:67], s[12:13], v[76:77]
	v_fmac_f64_e32 v[60:61], s[12:13], v[76:77]
	;; [unrolled: 1-line block ×3, first 2 shown]
	v_mov_b64_e32 v[76:77], v[48:49]
	v_fmac_f64_e32 v[78:79], s[24:25], v[58:59]
	v_add_f64 v[90:91], v[120:121], -v[130:131]
	v_add_f64 v[58:59], v[122:123], -v[128:129]
	;; [unrolled: 1-line block ×3, first 2 shown]
	v_add_f64 v[28:29], v[28:29], v[80:81]
	v_add_f64 v[80:81], v[44:45], v[86:87]
	v_add_f64 v[82:83], v[46:47], -v[84:85]
	v_add_f64 v[44:45], v[44:45], -v[86:87]
	v_add_f64 v[46:47], v[84:85], v[46:47]
	v_fmac_f64_e32 v[76:77], s[24:25], v[56:57]
	v_add_f64 v[84:85], v[130:131], -v[112:113]
	v_add_f64 v[56:57], v[122:123], v[128:129]
	v_add_f64 v[86:87], v[128:129], -v[114:115]
	v_mul_f64 v[108:109], v[58:59], s[28:29]
	v_mul_f64 v[58:59], v[90:91], s[2:3]
	v_add_f64 v[94:95], v[56:57], v[114:115]
	v_fma_f64 v[58:59], v[84:85], s[26:27], -v[58:59]
	v_fma_f64 v[98:99], v[86:87], s[14:15], -v[108:109]
	v_add_f64 v[64:65], v[40:41], v[62:63]
	v_add_f64 v[40:41], v[40:41], -v[62:63]
	v_add_f64 v[62:63], v[124:125], -v[126:127]
	v_add_f64 v[58:59], v[58:59], v[78:79]
	v_fmac_f64_e32 v[98:99], s[12:13], v[94:95]
	v_mul_f64 v[110:111], v[62:63], s[28:29]
	v_add_f64 v[62:63], v[98:99], v[58:59]
	v_add_f64 v[58:59], v[58:59], -v[98:99]
	v_add_f64 v[98:99], v[112:113], -v[120:121]
	v_add_f64 v[38:39], v[66:67], v[30:31]
	v_add_f64 v[30:31], v[30:31], -v[66:67]
	v_add_f64 v[66:67], v[42:43], -v[60:61]
	;; [unrolled: 3-line block ×3, first 2 shown]
	v_add_f64 v[60:61], v[124:125], v[126:127]
	v_add_f64 v[70:71], v[70:71], -v[118:119]
	v_mul_f64 v[98:99], v[98:99], s[18:19]
	v_add_f64 v[92:93], v[126:127], -v[116:117]
	v_add_f64 v[96:97], v[60:61], v[116:117]
	v_mul_f64 v[56:57], v[88:89], s[2:3]
	v_add_f64 v[112:113], v[114:115], -v[122:123]
	v_add_f64 v[114:115], v[116:117], -v[124:125]
	v_mul_f64 v[116:117], v[70:71], s[18:19]
	v_fma_f64 v[84:85], v[84:85], s[20:21], -v[98:99]
	v_fmac_f64_e32 v[98:99], s[2:3], v[90:91]
	v_add_f64 v[90:91], v[162:163], v[102:103]
	v_fma_f64 v[56:57], v[68:69], s[26:27], -v[56:57]
	v_fma_f64 v[126:127], v[92:93], s[14:15], -v[110:111]
	v_mul_f64 v[70:71], v[86:87], s[14:15]
	v_mul_f64 v[86:87], v[92:93], s[14:15]
	v_fma_f64 v[68:69], v[68:69], s[20:21], -v[116:117]
	v_fmac_f64_e32 v[116:117], s[2:3], v[88:89]
	v_fmac_f64_e32 v[110:111], s[16:17], v[114:115]
	v_add_f64 v[88:89], v[164:165], v[100:101]
	v_add_f64 v[90:91], v[152:153], v[90:91]
	;; [unrolled: 1-line block ×3, first 2 shown]
	v_fma_f64 v[70:71], v[112:113], s[22:23], -v[70:71]
	v_fma_f64 v[92:93], v[114:115], s[22:23], -v[86:87]
	v_add_f64 v[68:69], v[68:69], v[76:77]
	v_fmac_f64_e32 v[108:109], s[16:17], v[112:113]
	v_add_f64 v[76:77], v[116:117], v[76:77]
	v_fmac_f64_e32 v[110:111], s[12:13], v[96:97]
	v_add_f64 v[88:89], v[150:151], v[88:89]
	s_waitcnt lgkmcnt(0)
	v_add_f64 v[74:75], v[74:75], v[90:91]
	v_fmac_f64_e32 v[126:127], s[12:13], v[96:97]
	v_add_f64 v[118:119], v[84:85], v[78:79]
	v_fmac_f64_e32 v[70:71], s[12:13], v[94:95]
	v_fmac_f64_e32 v[92:93], s[12:13], v[96:97]
	v_add_f64 v[78:79], v[98:99], v[78:79]
	v_fmac_f64_e32 v[108:109], s[12:13], v[94:95]
	v_add_f64 v[96:97], v[76:77], v[110:111]
	v_add_f64 v[76:77], v[76:77], -v[110:111]
	v_add_f64 v[72:73], v[72:73], v[88:89]
	v_mov_b64_e32 v[110:111], v[74:75]
	v_add_f64 v[86:87], v[118:119], -v[70:71]
	v_add_f64 v[70:71], v[70:71], v[118:119]
	v_add_f64 v[98:99], v[78:79], -v[108:109]
	v_add_f64 v[78:79], v[108:109], v[78:79]
	v_mov_b64_e32 v[108:109], v[72:73]
	v_fmac_f64_e32 v[110:111], s[24:25], v[90:91]
	v_add_f64 v[118:119], v[152:153], -v[162:163]
	v_add_f64 v[90:91], v[154:155], -v[160:161]
	v_fmac_f64_e32 v[108:109], s[24:25], v[88:89]
	v_add_f64 v[114:115], v[162:163], -v[102:103]
	v_add_f64 v[88:89], v[154:155], v[160:161]
	v_add_f64 v[120:121], v[160:161], -v[104:105]
	v_mul_f64 v[128:129], v[90:91], s[28:29]
	v_mul_f64 v[90:91], v[118:119], s[2:3]
	v_add_f64 v[124:125], v[88:89], v[104:105]
	v_fma_f64 v[90:91], v[114:115], s[26:27], -v[90:91]
	v_fma_f64 v[132:133], v[120:121], s[14:15], -v[128:129]
	v_add_f64 v[84:85], v[68:69], v[92:93]
	v_add_f64 v[68:69], v[68:69], -v[92:93]
	v_add_f64 v[112:113], v[164:165], -v[100:101]
	;; [unrolled: 1-line block ×3, first 2 shown]
	v_add_f64 v[92:93], v[156:157], v[158:159]
	v_add_f64 v[94:95], v[156:157], -v[158:159]
	v_add_f64 v[90:91], v[90:91], v[110:111]
	v_fmac_f64_e32 v[132:133], s[12:13], v[124:125]
	v_add_f64 v[100:101], v[100:101], -v[150:151]
	v_add_f64 v[60:61], v[56:57], -v[126:127]
	v_add_f64 v[56:57], v[56:57], v[126:127]
	v_add_f64 v[122:123], v[158:159], -v[106:107]
	v_add_f64 v[126:127], v[92:93], v[106:107]
	v_mul_f64 v[130:131], v[94:95], s[28:29]
	v_mul_f64 v[88:89], v[116:117], s[2:3]
	v_add_f64 v[94:95], v[132:133], v[90:91]
	v_add_f64 v[90:91], v[90:91], -v[132:133]
	v_add_f64 v[102:103], v[102:103], -v[152:153]
	v_add_f64 v[106:107], v[106:107], -v[156:157]
	v_mul_f64 v[132:133], v[100:101], s[18:19]
	v_fma_f64 v[88:89], v[112:113], s[26:27], -v[88:89]
	v_fma_f64 v[158:159], v[122:123], s[14:15], -v[130:131]
	v_add_f64 v[104:105], v[104:105], -v[154:155]
	v_mul_f64 v[150:151], v[102:103], s[18:19]
	v_mul_f64 v[100:101], v[120:121], s[14:15]
	v_fma_f64 v[112:113], v[112:113], s[20:21], -v[132:133]
	v_fmac_f64_e32 v[132:133], s[2:3], v[116:117]
	v_fmac_f64_e32 v[130:131], s[16:17], v[106:107]
	v_mul_f64 v[102:103], v[122:123], s[14:15]
	v_fma_f64 v[114:115], v[114:115], s[20:21], -v[150:151]
	v_fma_f64 v[120:121], v[104:105], s[22:23], -v[100:101]
	v_fmac_f64_e32 v[150:151], s[2:3], v[118:119]
	v_fmac_f64_e32 v[128:129], s[16:17], v[104:105]
	v_add_f64 v[104:105], v[132:133], v[108:109]
	v_fmac_f64_e32 v[130:131], s[12:13], v[126:127]
	v_add_f64 v[88:89], v[88:89], v[108:109]
	v_fma_f64 v[100:101], v[106:107], s[22:23], -v[102:103]
	v_add_f64 v[102:103], v[112:113], v[108:109]
	v_add_f64 v[106:107], v[150:151], v[110:111]
	v_fmac_f64_e32 v[128:129], s[12:13], v[124:125]
	v_add_f64 v[116:117], v[104:105], v[130:131]
	v_add_f64 v[108:109], v[104:105], -v[130:131]
	v_add_f64 v[104:105], v[172:173], v[134:135]
	v_add_f64 v[122:123], v[114:115], v[110:111]
	v_add_f64 v[118:119], v[106:107], -v[128:129]
	v_add_f64 v[110:111], v[128:129], v[106:107]
	v_add_f64 v[104:105], v[142:143], v[104:105]
	;; [unrolled: 1-line block ×6, first 2 shown]
	v_mov_b64_e32 v[150:151], v[0:1]
	v_fmac_f64_e32 v[158:159], s[12:13], v[126:127]
	v_fmac_f64_e32 v[120:121], s[12:13], v[124:125]
	;; [unrolled: 1-line block ×4, first 2 shown]
	v_mov_b64_e32 v[104:105], v[2:3]
	v_add_f64 v[126:127], v[148:149], -v[166:167]
	v_add_f64 v[112:113], v[102:103], v[100:101]
	v_add_f64 v[114:115], v[122:123], -v[120:121]
	v_add_f64 v[100:101], v[102:103], -v[100:101]
	v_add_f64 v[102:103], v[120:121], v[122:123]
	v_fmac_f64_e32 v[104:105], s[24:25], v[106:107]
	v_add_f64 v[106:107], v[172:173], -v[134:135]
	v_add_f64 v[152:153], v[142:143], -v[172:173]
	v_add_f64 v[120:121], v[146:147], v[168:169]
	v_add_f64 v[124:125], v[148:149], v[166:167]
	v_add_f64 v[132:133], v[166:167], -v[140:141]
	v_mul_f64 v[162:163], v[126:127], s[28:29]
	v_add_f64 v[134:135], v[134:135], -v[142:143]
	v_add_f64 v[92:93], v[88:89], -v[158:159]
	v_add_f64 v[88:89], v[88:89], v[158:159]
	v_add_f64 v[128:129], v[170:171], -v[136:137]
	v_add_f64 v[154:155], v[144:145], -v[170:171]
	v_add_f64 v[122:123], v[146:147], -v[168:169]
	v_add_f64 v[156:157], v[120:121], v[138:139]
	v_add_f64 v[158:159], v[124:125], v[140:141]
	v_mul_f64 v[120:121], v[152:153], s[2:3]
	v_fma_f64 v[166:167], v[132:133], s[14:15], -v[162:163]
	v_add_f64 v[136:137], v[136:137], -v[144:145]
	v_add_f64 v[140:141], v[140:141], -v[148:149]
	v_mul_f64 v[142:143], v[134:135], s[18:19]
	v_mul_f64 v[132:133], v[132:133], s[14:15]
	;; [unrolled: 1-line block ×3, first 2 shown]
	v_fma_f64 v[120:121], v[106:107], s[26:27], -v[120:121]
	v_mul_f64 v[122:123], v[154:155], s[2:3]
	v_mul_f64 v[136:137], v[136:137], s[18:19]
	v_fma_f64 v[106:107], v[106:107], s[20:21], -v[142:143]
	v_fma_f64 v[132:133], v[140:141], s[22:23], -v[132:133]
	v_add_f64 v[130:131], v[168:169], -v[138:139]
	v_fma_f64 v[122:123], v[128:129], s[26:27], -v[122:123]
	v_add_f64 v[138:139], v[138:139], -v[146:147]
	v_fma_f64 v[128:129], v[128:129], s[20:21], -v[136:137]
	v_add_f64 v[106:107], v[106:107], v[150:151]
	v_fmac_f64_e32 v[132:133], s[12:13], v[158:159]
	v_add_f64 v[144:145], v[128:129], v[104:105]
	v_add_f64 v[128:129], v[106:107], v[132:133]
	v_add_f64 v[132:133], v[106:107], -v[132:133]
	v_fma_f64 v[106:107], s[2:3], v[152:153], v[142:143]
	v_fmac_f64_e32 v[136:137], s[2:3], v[154:155]
	v_fma_f64 v[142:143], s[16:17], v[138:139], v[160:161]
	v_fmac_f64_e32 v[162:163], s[16:17], v[140:141]
	v_fma_f64 v[164:165], v[130:131], s[14:15], -v[160:161]
	v_mul_f64 v[130:131], v[130:131], s[14:15]
	v_add_f64 v[106:107], v[106:107], v[150:151]
	v_add_f64 v[140:141], v[136:137], v[104:105]
	v_fmac_f64_e32 v[142:143], s[12:13], v[156:157]
	v_fmac_f64_e32 v[162:163], s[12:13], v[158:159]
	v_add_f64 v[126:127], v[122:123], v[104:105]
	v_fma_f64 v[134:135], v[138:139], s[22:23], -v[130:131]
	v_add_f64 v[136:137], v[106:107], v[162:163]
	v_add_f64 v[138:139], v[140:141], -v[142:143]
	v_add_f64 v[104:105], v[106:107], -v[162:163]
	v_add_f64 v[106:107], v[142:143], v[140:141]
	v_mul_lo_u16_e32 v140, 7, v206
	v_lshl_add_u32 v140, v140, 4, v223
	s_waitcnt lgkmcnt(0)
	; wave barrier
	ds_write_b128 v140, v[4:7]
	ds_write_b128 v140, v[52:55] offset:16
	ds_write_b128 v140, v[32:35] offset:32
	;; [unrolled: 1-line block ×5, first 2 shown]
	v_mul_u32_u24_e32 v4, 7, v214
	v_lshl_add_u32 v4, v4, 4, v223
	scratch_store_dword off, v140, off offset:108 ; 4-byte Folded Spill
	ds_write_b128 v140, v[24:27] offset:96
	ds_write_b128 v4, v[20:23]
	ds_write_b128 v4, v[80:83] offset:16
	ds_write_b128 v4, v[64:67] offset:32
	;; [unrolled: 1-line block ×5, first 2 shown]
	scratch_store_dword off, v4, off offset:88 ; 4-byte Folded Spill
	ds_write_b128 v4, v[44:47] offset:96
	v_mul_u32_u24_e32 v4, 7, v250
	v_lshl_add_u64 v[8:9], v[206:207], 0, 51
	v_lshl_add_u32 v4, v4, 4, v223
	s_load_dwordx2 s[2:3], s[0:1], 0x38
	s_mov_b64 s[0:1], 0x44
	ds_write_b128 v4, v[48:51]
	ds_write_b128 v4, v[96:99] offset:16
	ds_write_b128 v4, v[84:87] offset:32
	;; [unrolled: 1-line block ×5, first 2 shown]
	v_accvgpr_write_b32 a255, v4
	ds_write_b128 v4, v[76:79] offset:96
	v_mul_u32_u24_e32 v4, 7, v8
	v_lshl_add_u64 v[6:7], v[206:207], 0, s[0:1]
	v_lshl_add_u32 v4, v4, 4, v223
	v_add_f64 v[124:125], v[120:121], v[150:151]
	v_fmac_f64_e32 v[164:165], s[12:13], v[156:157]
	v_fmac_f64_e32 v[166:167], s[12:13], v[158:159]
	;; [unrolled: 1-line block ×3, first 2 shown]
	ds_write_b128 v4, v[72:75]
	ds_write_b128 v4, v[116:119] offset:16
	ds_write_b128 v4, v[112:115] offset:32
	;; [unrolled: 1-line block ×5, first 2 shown]
	v_accvgpr_write_b32 a209, v4
	ds_write_b128 v4, v[108:111] offset:96
	v_mul_u32_u24_e32 v4, 7, v6
	v_add_f64 v[120:121], v[124:125], -v[166:167]
	v_add_f64 v[122:123], v[164:165], v[126:127]
	v_add_f64 v[124:125], v[124:125], v[166:167]
	v_add_f64 v[126:127], v[126:127], -v[164:165]
	v_add_f64 v[130:131], v[144:145], -v[134:135]
	v_add_f64 v[134:135], v[134:135], v[144:145]
	v_lshl_add_u32 v4, v4, 4, v223
	ds_write_b128 v4, v[0:3]
	ds_write_b128 v4, v[136:139] offset:16
	ds_write_b128 v4, v[128:131] offset:32
	;; [unrolled: 1-line block ×6, first 2 shown]
	s_waitcnt lgkmcnt(0)
	; wave barrier
	s_waitcnt lgkmcnt(0)
	ds_read_b128 v[0:3], v222
	ds_read_b128 v[76:79], v222 offset:272
	ds_read_b128 v[200:203], v222 offset:560
	;; [unrolled: 1-line block ×33, first 2 shown]
	v_accvgpr_write_b32 a254, v8
	v_accvgpr_write_b32 a208, v6
	;; [unrolled: 1-line block ×3, first 2 shown]
                                        ; implicit-def: $vgpr52_vgpr53
                                        ; implicit-def: $vgpr56_vgpr57
                                        ; implicit-def: $vgpr60_vgpr61
                                        ; implicit-def: $vgpr64_vgpr65
                                        ; implicit-def: $vgpr36_vgpr37
                                        ; implicit-def: $vgpr40_vgpr41
                                        ; implicit-def: $vgpr44_vgpr45
                                        ; implicit-def: $vgpr48_vgpr49
                                        ; implicit-def: $vgpr20_vgpr21
                                        ; implicit-def: $vgpr24_vgpr25
                                        ; implicit-def: $vgpr28_vgpr29
                                        ; implicit-def: $vgpr32_vgpr33
                                        ; implicit-def: $vgpr4_vgpr5
                                        ; implicit-def: $vgpr8_vgpr9
                                        ; implicit-def: $vgpr12_vgpr13
                                        ; implicit-def: $vgpr16_vgpr17
	s_and_saveexec_b64 s[0:1], vcc
	s_cbranch_execz .LBB0_3
; %bb.2:
	ds_read_b128 v[104:107], v223 offset:544
	ds_read_b128 v[52:55], v223 offset:1104
	;; [unrolled: 1-line block ×17, first 2 shown]
.LBB0_3:
	s_or_b64 exec, exec, s[0:1]
	v_mov_b32_e32 v218, 37
	v_mul_lo_u16_sdwa v204, v206, v218 dst_sel:DWORD dst_unused:UNUSED_PAD src0_sel:BYTE_0 src1_sel:DWORD
	v_sub_u16_sdwa v205, v206, v204 dst_sel:DWORD dst_unused:UNUSED_PAD src0_sel:DWORD src1_sel:BYTE_1
	v_lshrrev_b16_e32 v205, 1, v205
	v_and_b32_e32 v205, 0x7f, v205
	v_add_u16_sdwa v204, v205, v204 dst_sel:DWORD dst_unused:UNUSED_PAD src0_sel:DWORD src1_sel:BYTE_1
	v_lshrrev_b16_e32 v205, 2, v204
	v_mul_lo_u16_e32 v204, 7, v205
	v_sub_u16_e32 v204, v206, v204
	v_mov_b32_e32 v208, 8
	v_lshlrev_b32_sdwa v209, v208, v204 dst_sel:DWORD dst_unused:UNUSED_PAD src0_sel:DWORD src1_sel:BYTE_0
	global_load_dwordx4 v[210:213], v209, s[10:11] offset:48
	global_load_dwordx4 v[224:227], v209, s[10:11] offset:32
	;; [unrolled: 1-line block ×3, first 2 shown]
	global_load_dwordx4 v[232:235], v209, s[10:11]
	v_accvgpr_write_b32 a0, v205
	v_accvgpr_write_b32 a1, v204
	;; [unrolled: 1-line block ×3, first 2 shown]
	s_mov_b32 s50, 0x7c9e640b
	s_mov_b32 s51, 0xbfeca52d
	;; [unrolled: 1-line block ×32, first 2 shown]
	v_accvgpr_write_b32 a40, v250
	s_mov_b32 s55, 0x3fe0d888
	s_mov_b32 s54, s30
	;; [unrolled: 1-line block ×16, first 2 shown]
	s_waitcnt vmcnt(3)
	scratch_store_dwordx4 off, v[210:213], off offset:576 ; 16-byte Folded Spill
	s_waitcnt vmcnt(3)
	scratch_store_dwordx4 off, v[224:227], off offset:592 ; 16-byte Folded Spill
	s_waitcnt vmcnt(3) lgkmcnt(14)
	v_mul_f64 v[236:237], v[196:197], v[230:231]
	s_waitcnt vmcnt(2)
	v_mul_f64 v[204:205], v[202:203], v[234:235]
	v_fma_f64 v[246:247], v[200:201], v[232:233], -v[204:205]
	v_mul_f64 v[244:245], v[200:201], v[234:235]
	v_mul_f64 v[200:201], v[198:199], v[230:231]
	v_fma_f64 v[238:239], v[196:197], v[228:229], -v[200:201]
	v_mul_f64 v[196:197], v[194:195], v[226:227]
	scratch_store_dwordx4 off, v[232:235], off offset:624 ; 16-byte Folded Spill
	scratch_store_dwordx4 off, v[228:231], off offset:608 ; 16-byte Folded Spill
	v_fma_f64 v[206:207], v[192:193], v[224:225], -v[196:197]
	v_mul_f64 v[204:205], v[192:193], v[226:227]
	v_mul_f64 v[192:193], v[190:191], v[212:213]
	;; [unrolled: 1-line block ×3, first 2 shown]
	v_fmac_f64_e32 v[244:245], v[202:203], v[232:233]
	v_fmac_f64_e32 v[236:237], v[198:199], v[228:229]
	;; [unrolled: 1-line block ×3, first 2 shown]
	v_fma_f64 v[202:203], v[188:189], v[210:211], -v[192:193]
	v_fmac_f64_e32 v[200:201], v[190:191], v[210:211]
	global_load_dwordx4 v[192:195], v209, s[10:11] offset:112
	global_load_dwordx4 v[210:213], v209, s[10:11] offset:96
	;; [unrolled: 1-line block ×4, first 2 shown]
	s_waitcnt vmcnt(3)
	v_accvgpr_write_b32 a221, v195
	s_waitcnt vmcnt(2)
	v_accvgpr_write_b32 a233, v213
	s_waitcnt vmcnt(1)
	v_mul_f64 v[190:191], v[180:181], v[226:227]
	s_waitcnt vmcnt(0)
	v_mul_f64 v[188:189], v[186:187], v[230:231]
	v_fma_f64 v[196:197], v[184:185], v[228:229], -v[188:189]
	v_mul_f64 v[198:199], v[184:185], v[230:231]
	v_mul_f64 v[184:185], v[182:183], v[226:227]
	v_fma_f64 v[188:189], v[180:181], v[224:225], -v[184:185]
	v_mul_f64 v[180:181], v[178:179], v[212:213]
	v_fmac_f64_e32 v[190:191], v[182:183], v[224:225]
	v_fma_f64 v[184:185], v[176:177], v[210:211], -v[180:181]
	v_mul_f64 v[182:183], v[176:177], v[212:213]
	v_mul_f64 v[176:177], v[174:175], v[194:195]
	scratch_store_dwordx4 off, v[228:231], off offset:640 ; 16-byte Folded Spill
	v_accvgpr_write_b32 a237, v227
	v_fmac_f64_e32 v[182:183], v[178:179], v[210:211]
	v_fma_f64 v[178:179], v[172:173], v[192:193], -v[176:177]
	v_mul_f64 v[176:177], v[172:173], v[194:195]
	v_fmac_f64_e32 v[198:199], v[186:187], v[228:229]
	v_accvgpr_write_b32 a236, v226
	v_accvgpr_write_b32 a235, v225
	;; [unrolled: 1-line block ×9, first 2 shown]
	v_fmac_f64_e32 v[176:177], v[174:175], v[192:193]
	global_load_dwordx4 v[192:195], v209, s[10:11] offset:176
	global_load_dwordx4 v[210:213], v209, s[10:11] offset:160
	;; [unrolled: 1-line block ×4, first 2 shown]
	s_waitcnt vmcnt(3)
	v_accvgpr_write_b32 a249, v195
	s_waitcnt vmcnt(2)
	v_accvgpr_write_b32 a253, v213
	;; [unrolled: 2-line block ×3, first 2 shown]
	s_waitcnt vmcnt(0)
	v_mul_f64 v[172:173], v[166:167], v[230:231]
	v_fma_f64 v[180:181], v[164:165], v[228:229], -v[172:173]
	v_mul_f64 v[164:165], v[164:165], v[230:231]
	v_fmac_f64_e32 v[164:165], v[166:167], v[228:229]
	s_waitcnt lgkmcnt(13)
	v_mul_f64 v[166:167], v[170:171], v[226:227]
	v_fma_f64 v[186:187], v[168:169], v[224:225], -v[166:167]
	v_mul_f64 v[166:167], v[168:169], v[226:227]
	s_waitcnt lgkmcnt(11)
	v_mul_f64 v[168:169], v[162:163], v[212:213]
	v_fma_f64 v[168:169], v[160:161], v[210:211], -v[168:169]
	v_mul_f64 v[160:161], v[160:161], v[212:213]
	v_fmac_f64_e32 v[160:161], v[162:163], v[210:211]
	s_waitcnt lgkmcnt(9)
	v_mul_f64 v[162:163], v[158:159], v[194:195]
	v_fma_f64 v[162:163], v[156:157], v[192:193], -v[162:163]
	v_mul_f64 v[156:157], v[156:157], v[194:195]
	v_accvgpr_write_b32 a228, v226
	v_accvgpr_write_b32 a227, v225
	;; [unrolled: 1-line block ×3, first 2 shown]
	v_fmac_f64_e32 v[166:167], v[170:171], v[224:225]
	v_accvgpr_write_b32 a252, v212
	v_accvgpr_write_b32 a251, v211
	;; [unrolled: 1-line block ×6, first 2 shown]
	v_fmac_f64_e32 v[156:157], v[158:159], v[192:193]
	global_load_dwordx4 v[172:175], v209, s[10:11] offset:240
	global_load_dwordx4 v[192:195], v209, s[10:11] offset:224
	;; [unrolled: 1-line block ×4, first 2 shown]
	v_accvgpr_write_b32 a148, v228
	v_accvgpr_write_b32 a149, v229
	;; [unrolled: 1-line block ×4, first 2 shown]
	s_waitcnt vmcnt(3)
	v_accvgpr_write_b32 a144, v172
	s_waitcnt vmcnt(2) lgkmcnt(3)
	v_mul_f64 v[240:241], v[144:145], v[194:195]
	v_accvgpr_write_b32 a152, v192
	s_waitcnt vmcnt(0)
	v_mul_f64 v[158:159], v[154:155], v[226:227]
	v_fma_f64 v[158:159], v[152:153], v[224:225], -v[158:159]
	v_mul_f64 v[152:153], v[152:153], v[226:227]
	v_fmac_f64_e32 v[152:153], v[154:155], v[224:225]
	v_mul_f64 v[154:155], v[150:151], v[212:213]
	v_fma_f64 v[170:171], v[148:149], v[210:211], -v[154:155]
	v_mul_f64 v[154:155], v[148:149], v[212:213]
	v_mul_f64 v[148:149], v[146:147], v[194:195]
	v_fma_f64 v[242:243], v[144:145], v[192:193], -v[148:149]
	s_waitcnt lgkmcnt(1)
	v_mul_f64 v[144:145], v[142:143], v[174:175]
	v_fma_f64 v[248:249], v[140:141], v[172:173], -v[144:145]
	v_mul_f64 v[140:141], v[140:141], v[174:175]
	v_fmac_f64_e32 v[140:141], v[142:143], v[172:173]
	v_mul_lo_u16_sdwa v142, v214, v218 dst_sel:DWORD dst_unused:UNUSED_PAD src0_sel:BYTE_0 src1_sel:DWORD
	v_sub_u16_sdwa v143, v214, v142 dst_sel:DWORD dst_unused:UNUSED_PAD src0_sel:DWORD src1_sel:BYTE_1
	v_lshrrev_b16_e32 v143, 1, v143
	v_and_b32_e32 v143, 0x7f, v143
	v_add_u16_sdwa v142, v143, v142 dst_sel:DWORD dst_unused:UNUSED_PAD src0_sel:DWORD src1_sel:BYTE_1
	v_lshrrev_b16_e32 v143, 2, v142
	v_mul_lo_u16_e32 v142, 7, v143
	v_sub_u16_e32 v215, v214, v142
	v_accvgpr_write_b32 a156, v210
	v_accvgpr_write_b32 a153, v193
	;; [unrolled: 1-line block ×4, first 2 shown]
	v_fmac_f64_e32 v[240:241], v[146:147], v[192:193]
	v_lshlrev_b32_sdwa v192, v208, v215 dst_sel:DWORD dst_unused:UNUSED_PAD src0_sel:DWORD src1_sel:BYTE_0
	v_accvgpr_write_b32 a157, v211
	v_accvgpr_write_b32 a158, v212
	;; [unrolled: 1-line block ×3, first 2 shown]
	v_fmac_f64_e32 v[154:155], v[150:151], v[210:211]
	v_accvgpr_write_b32 a145, v173
	v_accvgpr_write_b32 a146, v174
	;; [unrolled: 1-line block ×3, first 2 shown]
	global_load_dwordx4 v[144:147], v192, s[10:11] offset:48
	global_load_dwordx4 v[148:151], v192, s[10:11] offset:32
	;; [unrolled: 1-line block ×3, first 2 shown]
	global_load_dwordx4 v[208:211], v192, s[10:11]
	v_accvgpr_write_b32 a2, v143
	v_accvgpr_write_b32 a164, v224
	;; [unrolled: 1-line block ×5, first 2 shown]
	s_waitcnt vmcnt(3)
	v_accvgpr_write_b32 a163, v147
	v_accvgpr_write_b32 a162, v146
	s_waitcnt vmcnt(1)
	v_mul_f64 v[220:221], v[132:133], v[174:175]
	s_waitcnt vmcnt(0)
	v_mul_f64 v[142:143], v[138:139], v[210:211]
	v_fma_f64 v[230:231], v[136:137], v[208:209], -v[142:143]
	v_mul_f64 v[228:229], v[136:137], v[210:211]
	v_accvgpr_write_b32 a176, v208
	v_mul_f64 v[136:137], v[134:135], v[174:175]
	v_accvgpr_write_b32 a177, v209
	v_accvgpr_write_b32 a178, v210
	;; [unrolled: 1-line block ×3, first 2 shown]
	v_fma_f64 v[210:211], v[132:133], v[172:173], -v[136:137]
	v_accvgpr_write_b32 a172, v172
	v_mul_f64 v[132:133], v[130:131], v[150:151]
	v_fmac_f64_e32 v[228:229], v[138:139], v[208:209]
	v_accvgpr_write_b32 a173, v173
	v_accvgpr_write_b32 a174, v174
	;; [unrolled: 1-line block ×3, first 2 shown]
	v_fmac_f64_e32 v[220:221], v[134:135], v[172:173]
	v_fma_f64 v[212:213], v[128:129], v[148:149], -v[132:133]
	v_mul_f64 v[208:209], v[128:129], v[150:151]
	v_mul_f64 v[128:129], v[126:127], v[146:147]
	;; [unrolled: 1-line block ×3, first 2 shown]
	v_fmac_f64_e32 v[208:209], v[130:131], v[148:149]
	v_fma_f64 v[174:175], v[124:125], v[144:145], -v[128:129]
	v_accvgpr_write_b32 a161, v145
	v_accvgpr_write_b32 a160, v144
	v_fmac_f64_e32 v[172:173], v[126:127], v[144:145]
	global_load_dwordx4 v[126:129], v192, s[10:11] offset:112
	global_load_dwordx4 v[130:133], v192, s[10:11] offset:96
	;; [unrolled: 1-line block ×4, first 2 shown]
	v_accvgpr_write_b32 a171, v151
	v_accvgpr_write_b32 a170, v150
	;; [unrolled: 1-line block ×4, first 2 shown]
	s_waitcnt vmcnt(3)
	v_accvgpr_write_b32 a183, v129
	s_waitcnt vmcnt(2)
	v_accvgpr_write_b32 a191, v133
	;; [unrolled: 2-line block ×3, first 2 shown]
	s_waitcnt vmcnt(0)
	v_mul_f64 v[124:125], v[122:123], v[144:145]
	v_fma_f64 v[150:151], v[120:121], v[142:143], -v[124:125]
	v_mul_f64 v[148:149], v[120:121], v[144:145]
	v_accvgpr_write_b32 a203, v145
	v_mul_f64 v[120:121], v[118:119], v[136:137]
	v_accvgpr_write_b32 a202, v144
	v_accvgpr_write_b32 a201, v143
	;; [unrolled: 1-line block ×3, first 2 shown]
	v_fma_f64 v[146:147], v[116:117], v[134:135], -v[120:121]
	v_mul_f64 v[144:145], v[116:117], v[136:137]
	v_mul_f64 v[116:117], v[114:115], v[132:133]
	v_accvgpr_write_b32 a186, v136
	v_accvgpr_write_b32 a185, v135
	v_accvgpr_write_b32 a184, v134
	v_fmac_f64_e32 v[144:145], v[118:119], v[134:135]
	v_fma_f64 v[136:137], v[112:113], v[130:131], -v[116:117]
	v_mul_f64 v[118:119], v[112:113], v[132:133]
	v_mul_f64 v[112:113], v[110:111], v[128:129]
	v_fmac_f64_e32 v[118:119], v[114:115], v[130:131]
	v_fma_f64 v[114:115], v[108:109], v[126:127], -v[112:113]
	v_mul_f64 v[112:113], v[108:109], v[128:129]
	v_fmac_f64_e32 v[148:149], v[122:123], v[142:143]
	v_accvgpr_write_b32 a190, v132
	v_accvgpr_write_b32 a189, v131
	;; [unrolled: 1-line block ×6, first 2 shown]
	v_fmac_f64_e32 v[112:113], v[110:111], v[126:127]
	global_load_dwordx4 v[120:123], v192, s[10:11] offset:176
	global_load_dwordx4 v[124:127], v192, s[10:11] offset:160
	;; [unrolled: 1-line block ×4, first 2 shown]
	s_waitcnt vmcnt(3)
	v_accvgpr_write_b32 a195, v123
	s_waitcnt vmcnt(2)
	v_accvgpr_write_b32 a199, v127
	;; [unrolled: 2-line block ×3, first 2 shown]
	s_waitcnt vmcnt(0)
	v_mul_f64 v[108:109], v[98:99], v[134:135]
	v_fma_f64 v[116:117], v[96:97], v[132:133], -v[108:109]
	v_mul_f64 v[96:97], v[96:97], v[134:135]
	v_fmac_f64_e32 v[96:97], v[98:99], v[132:133]
	v_mul_f64 v[98:99], v[102:103], v[130:131]
	v_fma_f64 v[138:139], v[100:101], v[128:129], -v[98:99]
	v_mul_f64 v[98:99], v[100:101], v[130:131]
	v_mul_f64 v[100:101], v[94:95], v[126:127]
	v_fma_f64 v[100:101], v[92:93], v[124:125], -v[100:101]
	v_mul_f64 v[92:93], v[92:93], v[126:127]
	v_fmac_f64_e32 v[92:93], v[94:95], v[124:125]
	v_mul_f64 v[94:95], v[90:91], v[122:123]
	v_fmac_f64_e32 v[98:99], v[102:103], v[128:129]
	v_fma_f64 v[102:103], v[88:89], v[120:121], -v[94:95]
	v_mul_f64 v[94:95], v[88:89], v[122:123]
	v_accvgpr_write_b32 a206, v130
	v_accvgpr_write_b32 a205, v129
	;; [unrolled: 1-line block ×9, first 2 shown]
	v_fmac_f64_e32 v[94:95], v[90:91], v[120:121]
	global_load_dwordx4 v[108:111], v192, s[10:11] offset:240
	global_load_dwordx4 v[120:123], v192, s[10:11] offset:224
	;; [unrolled: 1-line block ×4, first 2 shown]
	v_accvgpr_write_b32 a92, v132
	v_accvgpr_write_b32 a93, v133
	;; [unrolled: 1-line block ×4, first 2 shown]
	s_waitcnt vmcnt(3) lgkmcnt(0)
	v_mul_f64 v[232:233], v[68:69], v[110:111]
	s_waitcnt vmcnt(2)
	v_mul_f64 v[224:225], v[72:73], v[122:123]
	s_waitcnt vmcnt(1)
	;; [unrolled: 2-line block ×3, first 2 shown]
	v_mul_f64 v[88:89], v[86:87], v[130:131]
	v_fma_f64 v[194:195], v[84:85], v[128:129], -v[88:89]
	v_mul_f64 v[192:193], v[84:85], v[130:131]
	v_mul_f64 v[84:85], v[82:83], v[126:127]
	v_fma_f64 v[84:85], v[80:81], v[124:125], -v[84:85]
	v_mul_f64 v[80:81], v[74:75], v[122:123]
	v_fma_f64 v[226:227], v[72:73], v[120:121], -v[80:81]
	;; [unrolled: 2-line block ×3, first 2 shown]
	v_mul_lo_u16_sdwa v68, v250, v218 dst_sel:DWORD dst_unused:UNUSED_PAD src0_sel:BYTE_0 src1_sel:DWORD
	v_sub_u16_sdwa v69, v250, v68 dst_sel:DWORD dst_unused:UNUSED_PAD src0_sel:DWORD src1_sel:BYTE_1
	v_lshrrev_b16_e32 v69, 1, v69
	v_and_b32_e32 v69, 0x7f, v69
	v_add_u16_sdwa v68, v69, v68 dst_sel:DWORD dst_unused:UNUSED_PAD src0_sel:DWORD src1_sel:BYTE_1
	v_lshrrev_b16_e32 v68, 2, v68
	v_mul_lo_u16_e32 v68, 7, v68
	v_sub_u16_e32 v68, v250, v68
	scratch_store_dword off, v68, off offset:84 ; 4-byte Folded Spill
	v_lshlrev_b16_e32 v68, 4, v68
	v_and_b32_e32 v68, 0xf0, v68
	v_accvgpr_write_b32 a88, v120
	v_accvgpr_write_b32 a48, v108
	v_lshlrev_b32_e32 v80, 4, v68
	v_fmac_f64_e32 v[192:193], v[86:87], v[128:129]
	v_accvgpr_write_b32 a89, v121
	v_accvgpr_write_b32 a90, v122
	;; [unrolled: 1-line block ×3, first 2 shown]
	v_fmac_f64_e32 v[224:225], v[74:75], v[120:121]
	v_accvgpr_write_b32 a49, v109
	v_accvgpr_write_b32 a50, v110
	v_accvgpr_write_b32 a51, v111
	v_fmac_f64_e32 v[232:233], v[70:71], v[108:109]
	global_load_dwordx4 v[120:123], v80, s[10:11] offset:48
	global_load_dwordx4 v[108:111], v80, s[10:11] offset:32
	;; [unrolled: 1-line block ×3, first 2 shown]
	global_load_dwordx4 v[72:75], v80, s[10:11]
	v_fmac_f64_e32 v[216:217], v[82:83], v[124:125]
	v_accvgpr_write_b32 a52, v124
	v_accvgpr_write_b32 a53, v125
	;; [unrolled: 1-line block ×4, first 2 shown]
	v_add_f64 v[126:127], v[244:245], -v[140:141]
	v_add_f64 v[124:125], v[246:247], -v[248:249]
	v_add_f64 v[250:251], v[236:237], v[240:241]
	v_accvgpr_write_b32 a60, v128
	v_accvgpr_write_b32 a61, v129
	;; [unrolled: 1-line block ×4, first 2 shown]
	s_waitcnt vmcnt(3)
	scratch_store_dwordx4 off, v[120:123], off offset:704 ; 16-byte Folded Spill
	s_waitcnt vmcnt(3)
	scratch_store_dwordx4 off, v[108:111], off offset:688 ; 16-byte Folded Spill
	;; [unrolled: 2-line block ×3, first 2 shown]
	s_waitcnt vmcnt(3)
	v_mul_f64 v[68:69], v[54:55], v[74:75]
	v_fma_f64 v[68:69], v[52:53], v[72:73], -v[68:69]
	v_mul_f64 v[70:71], v[52:53], v[74:75]
	v_mul_f64 v[52:53], v[58:59], v[88:89]
	v_fma_f64 v[52:53], v[56:57], v[86:87], -v[52:53]
	v_accvgpr_write_b32 a10, v52
	v_accvgpr_write_b32 a11, v53
	v_mul_f64 v[52:53], v[62:63], v[110:111]
	scratch_store_dwordx4 off, v[72:75], off offset:656 ; 16-byte Folded Spill
	v_fmac_f64_e32 v[70:71], v[54:55], v[72:73]
	v_fma_f64 v[52:53], v[60:61], v[108:109], -v[52:53]
	v_mul_f64 v[72:73], v[56:57], v[88:89]
	v_accvgpr_write_b32 a8, v68
	v_fmac_f64_e32 v[72:73], v[58:59], v[86:87]
	v_accvgpr_write_b32 a16, v52
	v_mul_f64 v[58:59], v[60:61], v[110:111]
	v_mul_f64 v[60:61], v[64:65], v[122:123]
	v_accvgpr_write_b32 a9, v69
	v_accvgpr_write_b32 a17, v53
	v_fmac_f64_e32 v[58:59], v[62:63], v[108:109]
	v_mul_f64 v[52:53], v[66:67], v[122:123]
	v_fmac_f64_e32 v[60:61], v[66:67], v[120:121]
	global_load_dwordx4 v[108:111], v80, s[10:11] offset:112
	global_load_dwordx4 v[86:89], v80, s[10:11] offset:96
	;; [unrolled: 1-line block ×4, first 2 shown]
	v_fma_f64 v[52:53], v[64:65], v[120:121], -v[52:53]
	v_accvgpr_write_b32 a18, v52
	v_accvgpr_write_b32 a19, v53
	s_waitcnt vmcnt(3)
	scratch_store_dwordx4 off, v[108:111], off offset:768 ; 16-byte Folded Spill
	s_waitcnt vmcnt(3)
	scratch_store_dwordx4 off, v[86:89], off offset:752 ; 16-byte Folded Spill
	s_waitcnt vmcnt(3)
	scratch_store_dwordx4 off, v[54:57], off offset:736 ; 16-byte Folded Spill
	s_waitcnt vmcnt(3)
	v_mul_f64 v[52:53], v[38:39], v[68:69]
	v_fma_f64 v[52:53], v[36:37], v[66:67], -v[52:53]
	v_mul_f64 v[64:65], v[36:37], v[68:69]
	v_mul_f64 v[36:37], v[42:43], v[56:57]
	v_fma_f64 v[36:37], v[40:41], v[54:55], -v[36:37]
	v_accvgpr_write_b32 a22, v36
	v_accvgpr_write_b32 a23, v37
	v_mul_f64 v[36:37], v[46:47], v[88:89]
	v_fma_f64 v[36:37], v[44:45], v[86:87], -v[36:37]
	scratch_store_dwordx4 off, v[66:69], off offset:720 ; 16-byte Folded Spill
	v_fmac_f64_e32 v[64:65], v[38:39], v[66:67]
	v_accvgpr_write_b32 a12, v36
	v_mul_f64 v[66:67], v[40:41], v[56:57]
	v_accvgpr_write_b32 a20, v52
	v_fmac_f64_e32 v[66:67], v[42:43], v[54:55]
	v_accvgpr_write_b32 a13, v37
	v_mul_f64 v[42:43], v[44:45], v[88:89]
	v_mul_f64 v[36:37], v[50:51], v[110:111]
	v_accvgpr_write_b32 a21, v53
	v_fmac_f64_e32 v[42:43], v[46:47], v[86:87]
	v_fma_f64 v[36:37], v[48:49], v[108:109], -v[36:37]
	v_mul_f64 v[44:45], v[48:49], v[110:111]
	global_load_dwordx4 v[38:41], v80, s[10:11] offset:176
	global_load_dwordx4 v[46:49], v80, s[10:11] offset:160
	;; [unrolled: 1-line block ×4, first 2 shown]
	v_accvgpr_write_b32 a4, v36
	v_accvgpr_write_b32 a5, v37
	v_fmac_f64_e32 v[44:45], v[50:51], v[108:109]
	v_add_f64 v[68:69], v[246:247], v[248:249]
	v_mul_f64 v[110:111], v[126:127], s[42:43]
	s_waitcnt vmcnt(3)
	scratch_store_dwordx4 off, v[38:41], off offset:784 ; 16-byte Folded Spill
	s_waitcnt vmcnt(3)
	scratch_store_dwordx4 off, v[46:49], off offset:800 ; 16-byte Folded Spill
	;; [unrolled: 2-line block ×3, first 2 shown]
	s_waitcnt vmcnt(3)
	v_mul_f64 v[36:37], v[22:23], v[88:89]
	v_fma_f64 v[36:37], v[20:21], v[86:87], -v[36:37]
	v_mul_f64 v[50:51], v[20:21], v[88:89]
	v_mul_f64 v[20:21], v[26:27], v[54:55]
	v_fma_f64 v[20:21], v[24:25], v[52:53], -v[20:21]
	v_accvgpr_write_b32 a14, v20
	v_accvgpr_write_b32 a15, v21
	v_mul_f64 v[20:21], v[30:31], v[48:49]
	v_fma_f64 v[20:21], v[28:29], v[46:47], -v[20:21]
	v_accvgpr_write_b32 a27, v21
	v_mul_f64 v[28:29], v[28:29], v[48:49]
	v_accvgpr_write_b32 a6, v36
	scratch_store_dwordx4 off, v[86:89], off offset:848 ; 16-byte Folded Spill
	v_accvgpr_write_b32 a26, v20
	v_fmac_f64_e32 v[28:29], v[30:31], v[46:47]
	v_mul_f64 v[20:21], v[34:35], v[40:41]
	v_mul_f64 v[30:31], v[32:33], v[40:41]
	v_accvgpr_write_b32 a7, v37
	v_fmac_f64_e32 v[50:51], v[22:23], v[86:87]
	v_mul_f64 v[74:75], v[24:25], v[54:55]
	v_fma_f64 v[20:21], v[32:33], v[38:39], -v[20:21]
	v_fmac_f64_e32 v[30:31], v[34:35], v[38:39]
	global_load_dwordx4 v[22:25], v80, s[10:11] offset:240
	global_load_dwordx4 v[32:35], v80, s[10:11] offset:224
	global_load_dwordx4 v[36:39], v80, s[10:11] offset:208
	global_load_dwordx4 v[46:49], v80, s[10:11] offset:192
	v_accvgpr_write_b32 a29, v21
	v_accvgpr_write_b32 a28, v20
	v_fmac_f64_e32 v[74:75], v[26:27], v[52:53]
	v_mul_f64 v[26:27], v[124:125], s[50:51]
	v_fma_f64 v[80:81], v[68:69], s[36:37], -v[110:111]
	v_fmac_f64_e32 v[110:111], s[36:37], v[68:69]
	v_add_f64 v[80:81], v[0:1], v[80:81]
	v_add_f64 v[110:111], v[0:1], v[110:111]
	s_waitcnt vmcnt(3)
	v_mul_f64 v[90:91], v[16:17], v[24:25]
	scratch_store_dwordx4 off, v[22:25], off offset:832 ; 16-byte Folded Spill
	s_waitcnt vmcnt(2)
	v_mul_f64 v[86:87], v[8:9], v[38:39]
	s_waitcnt vmcnt(1)
	v_mul_f64 v[20:21], v[6:7], v[48:49]
	v_fma_f64 v[20:21], v[4:5], v[46:47], -v[20:21]
	v_mul_f64 v[82:83], v[4:5], v[48:49]
	v_mul_f64 v[4:5], v[10:11], v[38:39]
	v_fma_f64 v[4:5], v[8:9], v[36:37], -v[4:5]
	v_accvgpr_write_b32 a33, v5
	v_accvgpr_write_b32 a32, v4
	v_mul_f64 v[4:5], v[14:15], v[34:35]
	v_fma_f64 v[4:5], v[12:13], v[32:33], -v[4:5]
	v_accvgpr_write_b32 a35, v5
	v_accvgpr_write_b32 a34, v4
	v_mul_f64 v[4:5], v[18:19], v[24:25]
	v_fmac_f64_e32 v[82:83], v[6:7], v[46:47]
	v_fma_f64 v[4:5], v[16:17], v[22:23], -v[4:5]
	v_add_f64 v[6:7], v[2:3], v[244:245]
	v_accvgpr_write_b32 a37, v5
	v_add_f64 v[6:7], v[6:7], v[236:237]
	v_accvgpr_write_b32 a31, v21
	v_accvgpr_write_b32 a36, v4
	v_add_f64 v[4:5], v[0:1], v[246:247]
	v_add_f64 v[6:7], v[6:7], v[204:205]
	v_mul_f64 v[24:25], v[126:127], s[50:51]
	v_accvgpr_write_b32 a30, v20
	scratch_store_dwordx4 off, v[36:39], off offset:880 ; 16-byte Folded Spill
	v_fmac_f64_e32 v[86:87], v[10:11], v[36:37]
	v_add_f64 v[4:5], v[4:5], v[238:239]
	v_add_f64 v[6:7], v[6:7], v[200:201]
	;; [unrolled: 1-line block ×3, first 2 shown]
	v_fma_f64 v[20:21], v[68:69], s[16:17], -v[24:25]
	v_fmac_f64_e32 v[24:25], s[16:17], v[68:69]
	v_add_f64 v[4:5], v[4:5], v[206:207]
	v_add_f64 v[6:7], v[6:7], v[198:199]
	;; [unrolled: 1-line block ×3, first 2 shown]
	v_fma_f64 v[24:25], v[36:37], s[16:17], -v[26:27]
	v_add_f64 v[4:5], v[4:5], v[202:203]
	v_add_f64 v[6:7], v[6:7], v[190:191]
	v_add_f64 v[40:41], v[2:3], v[24:25]
	v_mul_f64 v[24:25], v[126:127], s[46:47]
	v_fmac_f64_e32 v[90:91], v[18:19], v[22:23]
	v_add_f64 v[4:5], v[4:5], v[196:197]
	v_add_f64 v[6:7], v[6:7], v[182:183]
	v_fma_f64 v[22:23], s[16:17], v[36:37], v[26:27]
	v_fma_f64 v[26:27], v[68:69], s[0:1], -v[24:25]
	v_add_f64 v[4:5], v[4:5], v[188:189]
	v_add_f64 v[6:7], v[6:7], v[176:177]
	v_add_f64 v[52:53], v[0:1], v[26:27]
	v_mul_f64 v[26:27], v[124:125], s[46:47]
	v_fmac_f64_e32 v[24:25], s[0:1], v[68:69]
	scratch_store_dwordx4 off, v[46:49], off offset:896 ; 16-byte Folded Spill
	v_add_f64 v[4:5], v[4:5], v[184:185]
	v_add_f64 v[6:7], v[6:7], v[164:165]
	;; [unrolled: 1-line block ×3, first 2 shown]
	v_fma_f64 v[24:25], v[36:37], s[0:1], -v[26:27]
	v_mul_f64 v[88:89], v[12:13], v[34:35]
	v_add_f64 v[4:5], v[4:5], v[178:179]
	v_add_f64 v[6:7], v[6:7], v[166:167]
	;; [unrolled: 1-line block ×3, first 2 shown]
	v_mul_f64 v[24:25], v[126:127], s[14:15]
	scratch_store_dwordx4 off, v[32:35], off offset:864 ; 16-byte Folded Spill
	v_fmac_f64_e32 v[88:89], v[14:15], v[32:33]
	v_add_f64 v[4:5], v[4:5], v[180:181]
	v_add_f64 v[6:7], v[6:7], v[160:161]
	v_fma_f64 v[32:33], s[0:1], v[36:37], v[26:27]
	v_fma_f64 v[26:27], v[68:69], s[12:13], -v[24:25]
	v_add_f64 v[4:5], v[4:5], v[186:187]
	v_add_f64 v[6:7], v[6:7], v[156:157]
	v_add_f64 v[56:57], v[0:1], v[26:27]
	v_mul_f64 v[26:27], v[124:125], s[14:15]
	v_fmac_f64_e32 v[24:25], s[12:13], v[68:69]
	v_add_f64 v[4:5], v[4:5], v[168:169]
	v_add_f64 v[6:7], v[6:7], v[152:153]
	;; [unrolled: 1-line block ×3, first 2 shown]
	v_fma_f64 v[24:25], v[36:37], s[12:13], -v[26:27]
	v_add_f64 v[4:5], v[4:5], v[162:163]
	v_add_f64 v[6:7], v[6:7], v[154:155]
	v_add_f64 v[122:123], v[2:3], v[24:25]
	v_mul_f64 v[24:25], v[126:127], s[22:23]
	v_add_f64 v[4:5], v[4:5], v[158:159]
	v_add_f64 v[6:7], v[6:7], v[240:241]
	;; [unrolled: 1-line block ×3, first 2 shown]
	v_fma_f64 v[32:33], s[12:13], v[36:37], v[26:27]
	v_fma_f64 v[26:27], v[68:69], s[18:19], -v[24:25]
	v_add_f64 v[4:5], v[4:5], v[170:171]
	v_add_f64 v[6:7], v[6:7], v[140:141]
	;; [unrolled: 1-line block ×3, first 2 shown]
	v_mul_f64 v[26:27], v[124:125], s[22:23]
	v_add_f64 v[4:5], v[4:5], v[242:243]
	v_add_f64 v[62:63], v[2:3], v[32:33]
	v_fma_f64 v[32:33], s[18:19], v[36:37], v[26:27]
	v_fmac_f64_e32 v[24:25], s[18:19], v[68:69]
	v_add_f64 v[4:5], v[4:5], v[248:249]
	v_accvgpr_write_b32 a75, v7
	v_mul_f64 v[8:9], v[126:127], s[40:41]
	v_mul_f64 v[16:17], v[126:127], s[48:49]
	v_add_f64 v[142:143], v[2:3], v[32:33]
	v_add_f64 v[244:245], v[0:1], v[24:25]
	v_fma_f64 v[24:25], v[36:37], s[18:19], -v[26:27]
	v_mul_f64 v[32:33], v[126:127], s[30:31]
	v_accvgpr_write_b32 a74, v6
	v_accvgpr_write_b32 a73, v5
	;; [unrolled: 1-line block ×3, first 2 shown]
	v_fma_f64 v[4:5], v[68:69], s[26:27], -v[8:9]
	v_mul_f64 v[10:11], v[124:125], s[40:41]
	v_fmac_f64_e32 v[8:9], s[26:27], v[68:69]
	v_fma_f64 v[12:13], v[68:69], s[20:21], -v[16:17]
	v_mul_f64 v[18:19], v[124:125], s[48:49]
	v_fmac_f64_e32 v[16:17], s[20:21], v[68:69]
	v_add_f64 v[246:247], v[2:3], v[24:25]
	v_fma_f64 v[24:25], v[68:69], s[28:29], -v[32:33]
	v_mul_f64 v[34:35], v[124:125], s[30:31]
	v_fmac_f64_e32 v[32:33], s[28:29], v[68:69]
	v_mul_f64 v[124:125], v[124:125], s[42:43]
	v_add_f64 v[4:5], v[0:1], v[4:5]
	v_add_f64 v[8:9], v[0:1], v[8:9]
	;; [unrolled: 1-line block ×7, first 2 shown]
	v_fma_f64 v[0:1], v[36:37], s[36:37], -v[124:125]
	v_add_f64 v[236:237], v[236:237], -v[240:241]
	v_fma_f64 v[6:7], s[26:27], v[36:37], v[10:11]
	v_fma_f64 v[10:11], v[36:37], s[26:27], -v[10:11]
	v_fma_f64 v[14:15], s[20:21], v[36:37], v[18:19]
	v_fma_f64 v[18:19], v[36:37], s[20:21], -v[18:19]
	v_fma_f64 v[26:27], s[28:29], v[36:37], v[34:35]
	v_fma_f64 v[34:35], v[36:37], s[28:29], -v[34:35]
	v_fma_f64 v[108:109], s[36:37], v[36:37], v[124:125]
	v_add_f64 v[218:219], v[2:3], v[0:1]
	v_add_f64 v[248:249], v[238:239], v[242:243]
	v_mul_f64 v[0:1], v[236:237], s[48:49]
	v_add_f64 v[6:7], v[2:3], v[6:7]
	v_add_f64 v[10:11], v[2:3], v[10:11]
	;; [unrolled: 1-line block ×8, first 2 shown]
	v_add_f64 v[238:239], v[238:239], -v[242:243]
	v_fma_f64 v[2:3], v[248:249], s[20:21], -v[0:1]
	v_add_f64 v[36:37], v[2:3], v[4:5]
	v_mul_f64 v[2:3], v[238:239], s[48:49]
	v_fmac_f64_e32 v[0:1], s[20:21], v[248:249]
	v_add_f64 v[124:125], v[0:1], v[8:9]
	v_fma_f64 v[0:1], v[250:251], s[20:21], -v[2:3]
	v_add_f64 v[126:127], v[0:1], v[10:11]
	v_mul_f64 v[0:1], v[236:237], s[46:47]
	v_fma_f64 v[4:5], s[20:21], v[250:251], v[2:3]
	v_fma_f64 v[2:3], v[248:249], s[0:1], -v[0:1]
	v_add_f64 v[128:129], v[2:3], v[12:13]
	v_mul_f64 v[2:3], v[238:239], s[46:47]
	v_add_f64 v[68:69], v[4:5], v[6:7]
	v_fma_f64 v[4:5], s[0:1], v[250:251], v[2:3]
	v_fmac_f64_e32 v[0:1], s[0:1], v[248:249]
	v_add_f64 v[130:131], v[4:5], v[14:15]
	v_add_f64 v[132:133], v[0:1], v[16:17]
	v_fma_f64 v[0:1], v[250:251], s[0:1], -v[2:3]
	v_mul_f64 v[4:5], v[236:237], s[22:23]
	v_add_f64 v[134:135], v[0:1], v[18:19]
	v_fma_f64 v[0:1], v[248:249], s[18:19], -v[4:5]
	v_add_f64 v[0:1], v[0:1], v[20:21]
	v_mul_f64 v[20:21], v[236:237], s[54:55]
	v_mul_f64 v[12:13], v[236:237], s[42:43]
	v_fma_f64 v[16:17], v[248:249], s[28:29], -v[20:21]
	v_mul_f64 v[6:7], v[238:239], s[22:23]
	v_fma_f64 v[8:9], v[248:249], s[36:37], -v[12:13]
	v_add_f64 v[16:17], v[16:17], v[56:57]
	v_mul_f64 v[56:57], v[236:237], s[24:25]
	v_fma_f64 v[2:3], s[18:19], v[250:251], v[6:7]
	v_add_f64 v[8:9], v[8:9], v[52:53]
	v_mul_f64 v[14:15], v[238:239], s[42:43]
	v_fma_f64 v[52:53], v[248:249], s[16:17], -v[56:57]
	v_add_f64 v[2:3], v[2:3], v[22:23]
	v_fma_f64 v[10:11], s[36:37], v[250:251], v[14:15]
	v_mul_f64 v[22:23], v[238:239], s[54:55]
	v_add_f64 v[52:53], v[52:53], v[24:25]
	v_mul_f64 v[24:25], v[238:239], s[24:25]
	v_add_f64 v[10:11], v[10:11], v[54:55]
	v_fma_f64 v[18:19], s[28:29], v[250:251], v[22:23]
	v_fma_f64 v[54:55], s[16:17], v[250:251], v[24:25]
	v_fma_f64 v[24:25], v[250:251], s[16:17], -v[24:25]
	v_fmac_f64_e32 v[12:13], s[36:37], v[248:249]
	v_add_f64 v[18:19], v[18:19], v[62:63]
	v_add_f64 v[62:63], v[24:25], v[34:35]
	v_mul_f64 v[24:25], v[236:237], s[44:45]
	v_fmac_f64_e32 v[4:5], s[18:19], v[248:249]
	v_add_f64 v[12:13], v[12:13], v[46:47]
	v_fma_f64 v[14:15], v[250:251], s[36:37], -v[14:15]
	v_fmac_f64_e32 v[20:21], s[28:29], v[248:249]
	v_mul_f64 v[46:47], v[236:237], s[52:53]
	v_add_f64 v[54:55], v[54:55], v[26:27]
	v_fma_f64 v[26:27], v[248:249], s[26:27], -v[24:25]
	v_add_f64 v[4:5], v[4:5], v[38:39]
	v_fma_f64 v[6:7], v[250:251], s[18:19], -v[6:7]
	v_add_f64 v[14:15], v[14:15], v[48:49]
	v_add_f64 v[20:21], v[20:21], v[120:121]
	v_fma_f64 v[38:39], v[248:249], s[12:13], -v[46:47]
	v_mul_f64 v[48:49], v[238:239], s[52:53]
	v_add_f64 v[120:121], v[26:27], v[80:81]
	v_mul_f64 v[26:27], v[238:239], s[44:45]
	v_fmac_f64_e32 v[24:25], s[26:27], v[248:249]
	v_add_f64 v[6:7], v[6:7], v[40:41]
	v_add_f64 v[38:39], v[38:39], v[140:141]
	v_fma_f64 v[40:41], s[12:13], v[250:251], v[48:49]
	v_fmac_f64_e32 v[56:57], s[16:17], v[248:249]
	v_add_f64 v[140:141], v[24:25], v[110:111]
	v_fma_f64 v[24:25], v[250:251], s[26:27], -v[26:27]
	v_add_f64 v[34:35], v[204:205], -v[154:155]
	v_fma_f64 v[22:23], v[250:251], s[28:29], -v[22:23]
	v_add_f64 v[40:41], v[40:41], v[142:143]
	v_add_f64 v[56:57], v[56:57], v[32:33]
	v_fma_f64 v[32:33], s[26:27], v[250:251], v[26:27]
	v_add_f64 v[142:143], v[24:25], v[218:219]
	v_add_f64 v[24:25], v[206:207], v[170:171]
	v_mul_f64 v[80:81], v[34:35], s[50:51]
	v_add_f64 v[22:23], v[22:23], v[122:123]
	v_add_f64 v[122:123], v[32:33], v[108:109]
	v_add_f64 v[32:33], v[206:207], -v[170:171]
	v_fma_f64 v[108:109], v[24:25], s[16:17], -v[80:81]
	v_add_f64 v[26:27], v[204:205], v[154:155]
	v_add_f64 v[36:37], v[108:109], v[36:37]
	v_mul_f64 v[108:109], v[32:33], s[50:51]
	v_fmac_f64_e32 v[80:81], s[16:17], v[24:25]
	v_add_f64 v[124:125], v[80:81], v[124:125]
	v_fma_f64 v[80:81], v[26:27], s[16:17], -v[108:109]
	v_add_f64 v[126:127], v[80:81], v[126:127]
	v_mul_f64 v[80:81], v[34:35], s[22:23]
	v_fma_f64 v[110:111], s[16:17], v[26:27], v[108:109]
	v_fma_f64 v[108:109], v[24:25], s[18:19], -v[80:81]
	v_add_f64 v[128:129], v[108:109], v[128:129]
	v_mul_f64 v[108:109], v[32:33], s[22:23]
	v_fmac_f64_e32 v[80:81], s[18:19], v[24:25]
	v_add_f64 v[132:133], v[80:81], v[132:133]
	v_fma_f64 v[80:81], v[26:27], s[18:19], -v[108:109]
	v_add_f64 v[134:135], v[80:81], v[134:135]
	v_mul_f64 v[80:81], v[34:35], s[58:59]
	v_add_f64 v[68:69], v[110:111], v[68:69]
	v_fma_f64 v[110:111], s[18:19], v[26:27], v[108:109]
	v_fma_f64 v[108:109], v[24:25], s[36:37], -v[80:81]
	v_add_f64 v[0:1], v[108:109], v[0:1]
	v_mul_f64 v[108:109], v[32:33], s[58:59]
	v_fmac_f64_e32 v[80:81], s[36:37], v[24:25]
	v_add_f64 v[4:5], v[80:81], v[4:5]
	v_fma_f64 v[80:81], v[26:27], s[36:37], -v[108:109]
	v_add_f64 v[6:7], v[80:81], v[6:7]
	v_mul_f64 v[80:81], v[34:35], s[52:53]
	v_add_f64 v[130:131], v[110:111], v[130:131]
	;; [unrolled: 10-line block ×3, first 2 shown]
	v_fma_f64 v[110:111], s[12:13], v[26:27], v[108:109]
	v_fma_f64 v[108:109], v[24:25], s[20:21], -v[80:81]
	v_add_f64 v[154:155], v[108:109], v[16:17]
	v_mul_f64 v[16:17], v[32:33], s[38:39]
	v_fma_f64 v[108:109], s[20:21], v[26:27], v[16:17]
	v_fma_f64 v[16:17], v[26:27], s[20:21], -v[16:17]
	v_add_f64 v[206:207], v[16:17], v[22:23]
	v_mul_f64 v[16:17], v[34:35], s[40:41]
	v_add_f64 v[170:171], v[108:109], v[18:19]
	v_fma_f64 v[18:19], v[24:25], s[26:27], -v[16:17]
	v_fmac_f64_e32 v[80:81], s[20:21], v[24:25]
	v_add_f64 v[236:237], v[18:19], v[38:39]
	v_mul_f64 v[18:19], v[32:33], s[40:41]
	v_fmac_f64_e32 v[46:47], s[12:13], v[248:249]
	v_add_f64 v[204:205], v[80:81], v[20:21]
	v_fma_f64 v[20:21], s[26:27], v[26:27], v[18:19]
	v_add_f64 v[46:47], v[46:47], v[244:245]
	v_fma_f64 v[48:49], v[250:251], s[12:13], -v[48:49]
	v_add_f64 v[238:239], v[20:21], v[40:41]
	v_fmac_f64_e32 v[16:17], s[26:27], v[24:25]
	v_mul_f64 v[20:21], v[34:35], s[46:47]
	v_mul_f64 v[34:35], v[34:35], s[30:31]
	v_add_f64 v[48:49], v[48:49], v[246:247]
	v_add_f64 v[240:241], v[16:17], v[46:47]
	v_fma_f64 v[16:17], v[26:27], s[26:27], -v[18:19]
	v_mul_f64 v[22:23], v[32:33], s[46:47]
	v_fma_f64 v[38:39], v[24:25], s[28:29], -v[34:35]
	v_mul_f64 v[32:33], v[32:33], s[30:31]
	v_fmac_f64_e32 v[34:35], s[28:29], v[24:25]
	v_add_f64 v[242:243], v[16:17], v[48:49]
	v_fma_f64 v[16:17], v[24:25], s[0:1], -v[20:21]
	v_fmac_f64_e32 v[20:21], s[0:1], v[24:25]
	v_add_f64 v[46:47], v[34:35], v[140:141]
	v_fma_f64 v[24:25], v[26:27], s[28:29], -v[32:33]
	v_add_f64 v[34:35], v[200:201], -v[152:153]
	v_fma_f64 v[18:19], s[0:1], v[26:27], v[22:23]
	v_fma_f64 v[22:23], v[26:27], s[0:1], -v[22:23]
	v_fma_f64 v[40:41], s[28:29], v[26:27], v[32:33]
	v_add_f64 v[48:49], v[24:25], v[142:143]
	v_add_f64 v[24:25], v[202:203], v[158:159]
	v_add_f64 v[32:33], v[202:203], -v[158:159]
	v_mul_f64 v[80:81], v[34:35], s[42:43]
	v_add_f64 v[18:19], v[18:19], v[54:55]
	v_add_f64 v[22:23], v[22:23], v[62:63]
	;; [unrolled: 1-line block ×3, first 2 shown]
	v_mul_f64 v[54:55], v[34:35], s[46:47]
	v_fma_f64 v[62:63], v[24:25], s[36:37], -v[80:81]
	v_mul_f64 v[108:109], v[32:33], s[42:43]
	v_fmac_f64_e32 v[80:81], s[36:37], v[24:25]
	v_add_f64 v[16:17], v[16:17], v[52:53]
	v_add_f64 v[20:21], v[20:21], v[56:57]
	v_add_f64 v[38:39], v[38:39], v[120:121]
	v_fma_f64 v[52:53], v[24:25], s[0:1], -v[54:55]
	v_mul_f64 v[56:57], v[32:33], s[46:47]
	v_add_f64 v[120:121], v[80:81], v[132:133]
	v_fma_f64 v[80:81], v[26:27], s[36:37], -v[108:109]
	v_add_f64 v[40:41], v[40:41], v[122:123]
	v_add_f64 v[36:37], v[52:53], v[36:37]
	v_fma_f64 v[52:53], s[0:1], v[26:27], v[56:57]
	v_add_f64 v[122:123], v[80:81], v[134:135]
	v_mul_f64 v[80:81], v[34:35], s[52:53]
	v_add_f64 v[52:53], v[52:53], v[68:69]
	v_fmac_f64_e32 v[54:55], s[0:1], v[24:25]
	v_fma_f64 v[68:69], s[36:37], v[26:27], v[108:109]
	v_fma_f64 v[108:109], v[24:25], s[12:13], -v[80:81]
	v_add_f64 v[54:55], v[54:55], v[124:125]
	v_add_f64 v[124:125], v[108:109], v[0:1]
	v_mul_f64 v[0:1], v[32:33], s[52:53]
	v_fma_f64 v[108:109], s[12:13], v[26:27], v[0:1]
	v_fma_f64 v[0:1], v[26:27], s[12:13], -v[0:1]
	v_fma_f64 v[56:57], v[26:27], s[0:1], -v[56:57]
	v_add_f64 v[68:69], v[68:69], v[130:131]
	v_add_f64 v[130:131], v[0:1], v[6:7]
	v_mul_f64 v[0:1], v[34:35], s[44:45]
	v_add_f64 v[56:57], v[56:57], v[126:127]
	v_add_f64 v[126:127], v[108:109], v[2:3]
	v_fma_f64 v[2:3], v[24:25], s[26:27], -v[0:1]
	v_add_f64 v[8:9], v[2:3], v[8:9]
	v_mul_f64 v[2:3], v[32:33], s[44:45]
	v_fmac_f64_e32 v[0:1], s[26:27], v[24:25]
	v_add_f64 v[12:13], v[0:1], v[12:13]
	v_fma_f64 v[0:1], v[26:27], s[26:27], -v[2:3]
	v_fmac_f64_e32 v[80:81], s[12:13], v[24:25]
	v_add_f64 v[14:15], v[0:1], v[14:15]
	v_mul_f64 v[0:1], v[34:35], s[50:51]
	v_add_f64 v[62:63], v[62:63], v[128:129]
	v_add_f64 v[128:129], v[80:81], v[4:5]
	v_fma_f64 v[4:5], s[26:27], v[26:27], v[2:3]
	v_fma_f64 v[2:3], v[24:25], s[16:17], -v[0:1]
	v_mul_f64 v[80:81], v[34:35], s[56:57]
	v_add_f64 v[10:11], v[110:111], v[10:11]
	v_add_f64 v[132:133], v[2:3], v[154:155]
	v_mul_f64 v[2:3], v[32:33], s[50:51]
	v_fma_f64 v[108:109], v[24:25], s[18:19], -v[80:81]
	v_add_f64 v[10:11], v[4:5], v[10:11]
	v_fma_f64 v[4:5], s[16:17], v[26:27], v[2:3]
	v_add_f64 v[16:17], v[108:109], v[16:17]
	v_mul_f64 v[108:109], v[32:33], s[56:57]
	v_fmac_f64_e32 v[80:81], s[18:19], v[24:25]
	v_add_f64 v[134:135], v[4:5], v[170:171]
	v_fmac_f64_e32 v[0:1], s[16:17], v[24:25]
	v_mul_f64 v[4:5], v[34:35], s[30:31]
	v_add_f64 v[20:21], v[80:81], v[20:21]
	v_fma_f64 v[80:81], v[26:27], s[18:19], -v[108:109]
	v_mul_f64 v[34:35], v[34:35], s[38:39]
	v_add_f64 v[140:141], v[0:1], v[204:205]
	v_fma_f64 v[0:1], v[26:27], s[16:17], -v[2:3]
	;; [unrolled: 3-line block ×3, first 2 shown]
	v_mul_f64 v[32:33], v[32:33], s[38:39]
	v_fmac_f64_e32 v[34:35], s[20:21], v[24:25]
	v_add_f64 v[142:143], v[0:1], v[206:207]
	v_fma_f64 v[0:1], v[24:25], s[28:29], -v[4:5]
	v_fmac_f64_e32 v[4:5], s[28:29], v[24:25]
	v_add_f64 v[38:39], v[80:81], v[38:39]
	v_fma_f64 v[80:81], s[20:21], v[26:27], v[32:33]
	v_add_f64 v[46:47], v[34:35], v[46:47]
	v_fma_f64 v[24:25], v[26:27], s[20:21], -v[32:33]
	v_add_f64 v[34:35], v[198:199], -v[156:157]
	v_add_f64 v[40:41], v[80:81], v[40:41]
	v_add_f64 v[48:49], v[24:25], v[48:49]
	;; [unrolled: 1-line block ×3, first 2 shown]
	v_mul_f64 v[80:81], v[34:35], s[14:15]
	v_fma_f64 v[110:111], s[18:19], v[26:27], v[108:109]
	v_add_f64 v[32:33], v[196:197], -v[162:163]
	v_fma_f64 v[108:109], v[24:25], s[12:13], -v[80:81]
	v_fma_f64 v[2:3], s[28:29], v[26:27], v[6:7]
	v_fma_f64 v[6:7], v[26:27], s[28:29], -v[6:7]
	v_add_f64 v[26:27], v[198:199], v[156:157]
	v_add_f64 v[36:37], v[108:109], v[36:37]
	v_mul_f64 v[108:109], v[32:33], s[14:15]
	v_fmac_f64_e32 v[80:81], s[12:13], v[24:25]
	v_add_f64 v[54:55], v[80:81], v[54:55]
	v_fma_f64 v[80:81], v[26:27], s[12:13], -v[108:109]
	v_add_f64 v[56:57], v[80:81], v[56:57]
	v_mul_f64 v[80:81], v[34:35], s[54:55]
	v_add_f64 v[18:19], v[110:111], v[18:19]
	v_fma_f64 v[110:111], s[12:13], v[26:27], v[108:109]
	v_fma_f64 v[108:109], v[24:25], s[28:29], -v[80:81]
	v_add_f64 v[62:63], v[108:109], v[62:63]
	v_mul_f64 v[108:109], v[32:33], s[54:55]
	v_fmac_f64_e32 v[80:81], s[28:29], v[24:25]
	v_add_f64 v[120:121], v[80:81], v[120:121]
	v_fma_f64 v[80:81], v[26:27], s[28:29], -v[108:109]
	v_add_f64 v[122:123], v[80:81], v[122:123]
	v_mul_f64 v[80:81], v[34:35], s[38:39]
	v_add_f64 v[52:53], v[110:111], v[52:53]
	v_fma_f64 v[110:111], s[28:29], v[26:27], v[108:109]
	v_fma_f64 v[108:109], v[24:25], s[20:21], -v[80:81]
	;; [unrolled: 10-line block ×4, first 2 shown]
	v_add_f64 v[132:133], v[108:109], v[132:133]
	v_mul_f64 v[108:109], v[32:33], s[42:43]
	v_fmac_f64_e32 v[80:81], s[36:37], v[24:25]
	v_add_f64 v[140:141], v[80:81], v[140:141]
	v_fma_f64 v[80:81], v[26:27], s[36:37], -v[108:109]
	v_add_f64 v[142:143], v[80:81], v[142:143]
	v_mul_f64 v[80:81], v[34:35], s[34:35]
	v_add_f64 v[0:1], v[0:1], v[236:237]
	v_add_f64 v[10:11], v[110:111], v[10:11]
	v_fma_f64 v[110:111], s[36:37], v[26:27], v[108:109]
	v_fma_f64 v[108:109], v[24:25], s[0:1], -v[80:81]
	v_add_f64 v[4:5], v[4:5], v[240:241]
	v_add_f64 v[0:1], v[108:109], v[0:1]
	v_mul_f64 v[108:109], v[32:33], s[34:35]
	v_fmac_f64_e32 v[80:81], s[0:1], v[24:25]
	v_add_f64 v[6:7], v[6:7], v[242:243]
	v_add_f64 v[4:5], v[80:81], v[4:5]
	v_fma_f64 v[80:81], v[26:27], s[0:1], -v[108:109]
	v_add_f64 v[6:7], v[80:81], v[6:7]
	v_mul_f64 v[80:81], v[34:35], s[40:41]
	v_add_f64 v[134:135], v[110:111], v[134:135]
	v_fma_f64 v[110:111], s[0:1], v[26:27], v[108:109]
	v_fma_f64 v[108:109], v[24:25], s[26:27], -v[80:81]
	v_add_f64 v[16:17], v[108:109], v[16:17]
	v_mul_f64 v[108:109], v[32:33], s[40:41]
	v_fmac_f64_e32 v[80:81], s[26:27], v[24:25]
	v_add_f64 v[20:21], v[80:81], v[20:21]
	v_fma_f64 v[80:81], v[26:27], s[26:27], -v[108:109]
	v_mul_f64 v[34:35], v[34:35], s[22:23]
	v_add_f64 v[22:23], v[80:81], v[22:23]
	v_fma_f64 v[80:81], v[24:25], s[18:19], -v[34:35]
	v_mul_f64 v[32:33], v[32:33], s[22:23]
	v_add_f64 v[158:159], v[190:191], -v[160:161]
	v_add_f64 v[38:39], v[80:81], v[38:39]
	v_fma_f64 v[80:81], s[18:19], v[26:27], v[32:33]
	v_fmac_f64_e32 v[34:35], s[18:19], v[24:25]
	v_fma_f64 v[24:25], v[26:27], s[18:19], -v[32:33]
	v_add_f64 v[152:153], v[188:189], v[168:169]
	v_add_f64 v[156:157], v[188:189], -v[168:169]
	v_mul_f64 v[32:33], v[158:159], s[22:23]
	v_add_f64 v[2:3], v[2:3], v[238:239]
	v_add_f64 v[46:47], v[34:35], v[46:47]
	;; [unrolled: 1-line block ×4, first 2 shown]
	v_fma_f64 v[24:25], v[152:153], s[18:19], -v[32:33]
	v_mul_f64 v[34:35], v[156:157], s[22:23]
	v_fmac_f64_e32 v[32:33], s[18:19], v[152:153]
	v_add_f64 v[2:3], v[110:111], v[2:3]
	v_fma_f64 v[110:111], s[26:27], v[26:27], v[108:109]
	v_fma_f64 v[26:27], s[18:19], v[154:155], v[34:35]
	v_add_f64 v[32:33], v[32:33], v[54:55]
	v_fma_f64 v[34:35], v[154:155], s[18:19], -v[34:35]
	v_mul_f64 v[54:55], v[158:159], s[52:53]
	v_add_f64 v[24:25], v[24:25], v[36:37]
	v_add_f64 v[34:35], v[34:35], v[56:57]
	v_fma_f64 v[36:37], v[152:153], s[12:13], -v[54:55]
	v_mul_f64 v[56:57], v[156:157], s[52:53]
	v_add_f64 v[26:27], v[26:27], v[52:53]
	v_add_f64 v[36:37], v[36:37], v[62:63]
	v_fma_f64 v[52:53], s[12:13], v[154:155], v[56:57]
	v_mul_f64 v[62:63], v[158:159], s[40:41]
	v_add_f64 v[18:19], v[110:111], v[18:19]
	v_add_f64 v[52:53], v[52:53], v[68:69]
	v_fma_f64 v[68:69], v[152:153], s[26:27], -v[62:63]
	v_mul_f64 v[110:111], v[156:157], s[40:41]
	v_fmac_f64_e32 v[62:63], s[26:27], v[152:153]
	v_add_f64 v[108:109], v[62:63], v[128:129]
	v_fma_f64 v[62:63], v[154:155], s[26:27], -v[110:111]
	v_add_f64 v[40:41], v[80:81], v[40:41]
	v_fmac_f64_e32 v[54:55], s[12:13], v[152:153]
	v_fma_f64 v[80:81], s[26:27], v[154:155], v[110:111]
	v_add_f64 v[110:111], v[62:63], v[130:131]
	v_mul_f64 v[62:63], v[158:159], s[30:31]
	v_add_f64 v[54:55], v[54:55], v[120:121]
	v_fma_f64 v[120:121], v[152:153], s[28:29], -v[62:63]
	v_add_f64 v[8:9], v[120:121], v[8:9]
	v_mul_f64 v[120:121], v[156:157], s[30:31]
	v_fmac_f64_e32 v[62:63], s[28:29], v[152:153]
	v_add_f64 v[12:13], v[62:63], v[12:13]
	v_fma_f64 v[62:63], v[154:155], s[28:29], -v[120:121]
	v_fma_f64 v[56:57], v[154:155], s[12:13], -v[56:57]
	v_add_f64 v[14:15], v[62:63], v[14:15]
	v_mul_f64 v[62:63], v[158:159], s[34:35]
	v_add_f64 v[56:57], v[56:57], v[122:123]
	v_add_f64 v[80:81], v[80:81], v[126:127]
	v_fma_f64 v[122:123], s[28:29], v[154:155], v[120:121]
	v_fma_f64 v[120:121], v[152:153], s[0:1], -v[62:63]
	v_mul_f64 v[126:127], v[156:157], s[34:35]
	v_fmac_f64_e32 v[62:63], s[0:1], v[152:153]
	v_add_f64 v[68:69], v[68:69], v[124:125]
	v_add_f64 v[124:125], v[62:63], v[140:141]
	v_fma_f64 v[62:63], v[154:155], s[0:1], -v[126:127]
	v_add_f64 v[10:11], v[122:123], v[10:11]
	v_fma_f64 v[122:123], s[0:1], v[154:155], v[126:127]
	v_add_f64 v[126:127], v[62:63], v[142:143]
	v_mul_f64 v[62:63], v[158:159], s[48:49]
	v_fma_f64 v[128:129], v[152:153], s[20:21], -v[62:63]
	v_add_f64 v[0:1], v[128:129], v[0:1]
	v_mul_f64 v[128:129], v[156:157], s[48:49]
	v_fmac_f64_e32 v[62:63], s[20:21], v[152:153]
	v_add_f64 v[4:5], v[62:63], v[4:5]
	v_fma_f64 v[62:63], v[154:155], s[20:21], -v[128:129]
	v_fma_f64 v[130:131], s[20:21], v[154:155], v[128:129]
	v_add_f64 v[6:7], v[62:63], v[6:7]
	v_mul_f64 v[62:63], v[158:159], s[42:43]
	v_add_f64 v[2:3], v[130:131], v[2:3]
	v_fma_f64 v[128:129], v[152:153], s[36:37], -v[62:63]
	v_mul_f64 v[130:131], v[156:157], s[42:43]
	v_add_f64 v[16:17], v[128:129], v[16:17]
	v_fma_f64 v[128:129], s[36:37], v[154:155], v[130:131]
	v_add_f64 v[128:129], v[128:129], v[18:19]
	v_fma_f64 v[18:19], v[154:155], s[36:37], -v[130:131]
	v_fmac_f64_e32 v[62:63], s[36:37], v[152:153]
	v_add_f64 v[22:23], v[18:19], v[22:23]
	v_mul_f64 v[18:19], v[158:159], s[24:25]
	v_add_f64 v[20:21], v[62:63], v[20:21]
	v_fma_f64 v[62:63], v[152:153], s[16:17], -v[18:19]
	v_add_f64 v[130:131], v[62:63], v[38:39]
	v_mul_f64 v[38:39], v[156:157], s[24:25]
	v_fmac_f64_e32 v[18:19], s[16:17], v[152:153]
	v_add_f64 v[122:123], v[122:123], v[134:135]
	v_add_f64 v[134:135], v[18:19], v[46:47]
	v_fma_f64 v[18:19], v[154:155], s[16:17], -v[38:39]
	v_add_f64 v[198:199], v[182:183], -v[166:167]
	v_add_f64 v[140:141], v[18:19], v[48:49]
	v_add_f64 v[152:153], v[184:185], v[186:187]
	v_mul_f64 v[18:19], v[198:199], s[30:31]
	v_fma_f64 v[62:63], s[16:17], v[154:155], v[38:39]
	v_add_f64 v[196:197], v[184:185], -v[186:187]
	v_fma_f64 v[38:39], v[152:153], s[28:29], -v[18:19]
	v_add_f64 v[154:155], v[182:183], v[166:167]
	v_add_f64 v[142:143], v[38:39], v[24:25]
	v_mul_f64 v[38:39], v[196:197], s[30:31]
	v_fmac_f64_e32 v[18:19], s[28:29], v[152:153]
	v_add_f64 v[48:49], v[18:19], v[32:33]
	v_fma_f64 v[18:19], v[154:155], s[28:29], -v[38:39]
	v_fma_f64 v[24:25], s[28:29], v[154:155], v[38:39]
	v_add_f64 v[46:47], v[18:19], v[34:35]
	v_mul_f64 v[18:19], v[198:199], s[24:25]
	v_add_f64 v[24:25], v[24:25], v[26:27]
	v_fma_f64 v[26:27], v[152:153], s[16:17], -v[18:19]
	v_add_f64 v[120:121], v[120:121], v[132:133]
	v_add_f64 v[132:133], v[62:63], v[40:41]
	;; [unrolled: 1-line block ×3, first 2 shown]
	v_mul_f64 v[26:27], v[196:197], s[24:25]
	v_fmac_f64_e32 v[18:19], s[16:17], v[152:153]
	v_add_f64 v[62:63], v[18:19], v[54:55]
	v_fma_f64 v[18:19], v[154:155], s[16:17], -v[26:27]
	v_add_f64 v[36:37], v[18:19], v[56:57]
	v_mul_f64 v[18:19], v[198:199], s[46:47]
	v_fma_f64 v[32:33], s[16:17], v[154:155], v[26:27]
	v_fma_f64 v[26:27], v[152:153], s[0:1], -v[18:19]
	v_add_f64 v[56:57], v[26:27], v[68:69]
	v_mul_f64 v[26:27], v[196:197], s[46:47]
	v_fmac_f64_e32 v[18:19], s[0:1], v[152:153]
	v_add_f64 v[68:69], v[18:19], v[108:109]
	v_fma_f64 v[18:19], v[154:155], s[0:1], -v[26:27]
	v_add_f64 v[38:39], v[32:33], v[52:53]
	v_add_f64 v[52:53], v[18:19], v[110:111]
	v_mul_f64 v[18:19], v[198:199], s[56:57]
	v_fma_f64 v[32:33], s[0:1], v[154:155], v[26:27]
	v_fma_f64 v[26:27], v[152:153], s[18:19], -v[18:19]
	v_add_f64 v[156:157], v[26:27], v[8:9]
	v_mul_f64 v[8:9], v[196:197], s[56:57]
	v_fma_f64 v[26:27], s[18:19], v[154:155], v[8:9]
	v_fma_f64 v[8:9], v[154:155], s[18:19], -v[8:9]
	v_add_f64 v[162:163], v[8:9], v[14:15]
	v_mul_f64 v[8:9], v[198:199], s[40:41]
	v_add_f64 v[158:159], v[26:27], v[10:11]
	v_fma_f64 v[10:11], v[152:153], s[26:27], -v[8:9]
	v_add_f64 v[190:191], v[10:11], v[120:121]
	v_mul_f64 v[10:11], v[196:197], s[40:41]
	v_fmac_f64_e32 v[8:9], s[26:27], v[152:153]
	v_add_f64 v[168:169], v[8:9], v[124:125]
	v_fma_f64 v[8:9], v[154:155], s[26:27], -v[10:11]
	v_fmac_f64_e32 v[18:19], s[18:19], v[152:153]
	v_add_f64 v[170:171], v[8:9], v[126:127]
	v_mul_f64 v[8:9], v[198:199], s[42:43]
	v_add_f64 v[160:161], v[18:19], v[12:13]
	v_fma_f64 v[12:13], s[26:27], v[154:155], v[10:11]
	v_fma_f64 v[10:11], v[152:153], s[36:37], -v[8:9]
	v_add_f64 v[188:189], v[10:11], v[0:1]
	v_mul_f64 v[0:1], v[196:197], s[42:43]
	v_fma_f64 v[10:11], s[36:37], v[154:155], v[0:1]
	v_fma_f64 v[0:1], v[154:155], s[36:37], -v[0:1]
	v_add_f64 v[182:183], v[0:1], v[6:7]
	v_mul_f64 v[0:1], v[198:199], s[38:39]
	v_add_f64 v[186:187], v[10:11], v[2:3]
	v_fma_f64 v[2:3], v[152:153], s[20:21], -v[0:1]
	v_add_f64 v[18:19], v[2:3], v[16:17]
	v_mul_f64 v[2:3], v[196:197], s[38:39]
	v_fmac_f64_e32 v[0:1], s[20:21], v[152:153]
	v_fmac_f64_e32 v[8:9], s[36:37], v[152:153]
	v_add_f64 v[10:11], v[0:1], v[20:21]
	v_fma_f64 v[0:1], v[154:155], s[20:21], -v[2:3]
	v_add_f64 v[184:185], v[8:9], v[4:5]
	v_add_f64 v[8:9], v[0:1], v[22:23]
	v_mul_f64 v[0:1], v[198:199], s[14:15]
	v_add_f64 v[22:23], v[176:177], -v[164:165]
	v_add_f64 v[166:167], v[12:13], v[122:123]
	v_fma_f64 v[4:5], s[20:21], v[154:155], v[2:3]
	v_fma_f64 v[2:3], v[152:153], s[12:13], -v[0:1]
	v_mul_f64 v[12:13], v[196:197], s[14:15]
	v_add_f64 v[14:15], v[178:179], v[180:181]
	v_mul_f64 v[26:27], v[22:23], s[42:43]
	v_add_f64 v[54:55], v[32:33], v[80:81]
	v_add_f64 v[6:7], v[2:3], v[130:131]
	v_fma_f64 v[2:3], s[12:13], v[154:155], v[12:13]
	v_fmac_f64_e32 v[0:1], s[12:13], v[152:153]
	v_add_f64 v[20:21], v[178:179], -v[180:181]
	v_fma_f64 v[32:33], v[14:15], s[36:37], -v[26:27]
	v_add_f64 v[16:17], v[4:5], v[128:129]
	v_add_f64 v[4:5], v[2:3], v[132:133]
	;; [unrolled: 1-line block ×3, first 2 shown]
	v_fma_f64 v[0:1], v[154:155], s[12:13], -v[12:13]
	v_add_f64 v[12:13], v[176:177], v[164:165]
	v_add_f64 v[108:109], v[32:33], v[142:143]
	v_mul_f64 v[32:33], v[20:21], s[42:43]
	v_fma_f64 v[34:35], s[36:37], v[12:13], v[32:33]
	v_add_f64 v[110:111], v[34:35], v[24:25]
	v_accvgpr_write_b32 a76, v108
	v_fma_f64 v[24:25], v[12:13], s[36:37], -v[32:33]
	v_accvgpr_write_b32 a77, v109
	v_accvgpr_write_b32 a78, v110
	;; [unrolled: 1-line block ×3, first 2 shown]
	v_fmac_f64_e32 v[26:27], s[36:37], v[14:15]
	v_add_f64 v[110:111], v[24:25], v[46:47]
	v_mul_f64 v[24:25], v[22:23], s[44:45]
	v_add_f64 v[108:109], v[26:27], v[48:49]
	v_fma_f64 v[26:27], v[14:15], s[26:27], -v[24:25]
	v_add_f64 v[46:47], v[26:27], v[40:41]
	v_mul_f64 v[26:27], v[20:21], s[44:45]
	v_fma_f64 v[32:33], s[26:27], v[12:13], v[26:27]
	v_fmac_f64_e32 v[24:25], s[26:27], v[14:15]
	v_add_f64 v[48:49], v[32:33], v[38:39]
	v_add_f64 v[32:33], v[24:25], v[62:63]
	v_fma_f64 v[24:25], v[12:13], s[26:27], -v[26:27]
	v_add_f64 v[34:35], v[24:25], v[36:37]
	v_mul_f64 v[24:25], v[22:23], s[30:31]
	v_fma_f64 v[26:27], v[14:15], s[28:29], -v[24:25]
	v_add_f64 v[0:1], v[0:1], v[140:141]
	v_add_f64 v[140:141], v[26:27], v[56:57]
	v_mul_f64 v[26:27], v[20:21], s[30:31]
	v_fmac_f64_e32 v[24:25], s[28:29], v[14:15]
	v_add_f64 v[152:153], v[24:25], v[68:69]
	v_fma_f64 v[24:25], v[12:13], s[28:29], -v[26:27]
	v_accvgpr_write_b32 a111, v35
	v_add_f64 v[154:155], v[24:25], v[52:53]
	v_mul_f64 v[24:25], v[22:23], s[38:39]
	v_accvgpr_write_b32 a110, v34
	v_accvgpr_write_b32 a109, v33
	;; [unrolled: 1-line block ×3, first 2 shown]
	v_fma_f64 v[32:33], s[28:29], v[12:13], v[26:27]
	v_fma_f64 v[26:27], v[14:15], s[20:21], -v[24:25]
	v_add_f64 v[156:157], v[26:27], v[156:157]
	v_mul_f64 v[26:27], v[20:21], s[38:39]
	v_fmac_f64_e32 v[24:25], s[20:21], v[14:15]
	v_add_f64 v[160:161], v[24:25], v[160:161]
	v_fma_f64 v[24:25], v[12:13], s[20:21], -v[26:27]
	v_add_f64 v[162:163], v[24:25], v[162:163]
	v_mul_f64 v[24:25], v[22:23], s[22:23]
	v_add_f64 v[142:143], v[32:33], v[54:55]
	v_fma_f64 v[32:33], s[20:21], v[12:13], v[26:27]
	v_fma_f64 v[26:27], v[14:15], s[18:19], -v[24:25]
	v_add_f64 v[164:165], v[26:27], v[190:191]
	v_mul_f64 v[26:27], v[20:21], s[22:23]
	v_fmac_f64_e32 v[24:25], s[18:19], v[14:15]
	v_add_f64 v[168:169], v[24:25], v[168:169]
	v_fma_f64 v[24:25], v[12:13], s[18:19], -v[26:27]
	v_add_f64 v[170:171], v[24:25], v[170:171]
	v_mul_f64 v[24:25], v[22:23], s[24:25]
	v_add_f64 v[158:159], v[32:33], v[158:159]
	;; [unrolled: 10-line block ×3, first 2 shown]
	v_fma_f64 v[32:33], s[16:17], v[12:13], v[26:27]
	v_fma_f64 v[26:27], v[14:15], s[12:13], -v[24:25]
	v_add_f64 v[184:185], v[26:27], v[18:19]
	v_mul_f64 v[18:19], v[20:21], s[14:15]
	v_fmac_f64_e32 v[24:25], s[12:13], v[14:15]
	v_add_f64 v[188:189], v[24:25], v[10:11]
	v_fma_f64 v[10:11], v[12:13], s[12:13], -v[18:19]
	v_add_f64 v[190:191], v[10:11], v[8:9]
	v_mul_f64 v[8:9], v[22:23], s[34:35]
	v_fma_f64 v[10:11], v[14:15], s[0:1], -v[8:9]
	v_add_f64 v[196:197], v[10:11], v[6:7]
	v_mul_f64 v[6:7], v[20:21], s[34:35]
	v_fmac_f64_e32 v[8:9], s[0:1], v[14:15]
	v_add_f64 v[200:201], v[8:9], v[2:3]
	v_fma_f64 v[2:3], v[12:13], s[0:1], -v[6:7]
	v_add_f64 v[202:203], v[2:3], v[0:1]
	v_add_f64 v[0:1], v[76:77], v[230:231]
	;; [unrolled: 1-line block ×17, first 2 shown]
	v_add_f64 v[124:125], v[228:229], -v[232:233]
	v_add_f64 v[178:179], v[32:33], v[186:187]
	v_fma_f64 v[26:27], s[12:13], v[12:13], v[18:19]
	v_add_f64 v[0:1], v[0:1], v[116:117]
	v_add_f64 v[2:3], v[2:3], v[96:97]
	;; [unrolled: 1-line block ×3, first 2 shown]
	v_mul_f64 v[24:25], v[124:125], s[46:47]
	v_add_f64 v[186:187], v[26:27], v[16:17]
	v_add_f64 v[0:1], v[0:1], v[138:139]
	;; [unrolled: 1-line block ×3, first 2 shown]
	v_add_f64 v[34:35], v[230:231], -v[234:235]
	v_fma_f64 v[26:27], v[32:33], s[0:1], -v[24:25]
	v_add_f64 v[0:1], v[0:1], v[100:101]
	v_add_f64 v[2:3], v[2:3], v[92:93]
	;; [unrolled: 1-line block ×4, first 2 shown]
	v_mul_f64 v[26:27], v[34:35], s[46:47]
	v_fmac_f64_e32 v[24:25], s[0:1], v[32:33]
	v_accvgpr_write_b32 a107, v49
	v_add_f64 v[0:1], v[0:1], v[102:103]
	v_add_f64 v[2:3], v[2:3], v[94:95]
	;; [unrolled: 1-line block ×3, first 2 shown]
	v_fma_f64 v[24:25], v[54:55], s[0:1], -v[26:27]
	v_accvgpr_write_b32 a106, v48
	v_accvgpr_write_b32 a105, v47
	v_accvgpr_write_b32 a104, v46
	v_add_f64 v[0:1], v[0:1], v[194:195]
	v_add_f64 v[2:3], v[2:3], v[192:193]
	;; [unrolled: 1-line block ×3, first 2 shown]
	v_mul_f64 v[24:25], v[124:125], s[14:15]
	v_fma_f64 v[10:11], s[0:1], v[12:13], v[6:7]
	v_add_f64 v[0:1], v[0:1], v[84:85]
	v_add_f64 v[2:3], v[2:3], v[216:217]
	v_fma_f64 v[38:39], s[0:1], v[54:55], v[26:27]
	v_fma_f64 v[26:27], v[32:33], s[12:13], -v[24:25]
	v_accvgpr_write_b32 a100, v108
	v_add_f64 v[198:199], v[10:11], v[4:5]
	v_add_f64 v[0:1], v[0:1], v[226:227]
	v_add_f64 v[2:3], v[2:3], v[224:225]
	v_mul_f64 v[4:5], v[124:125], s[40:41]
	v_mul_f64 v[6:7], v[34:35], s[40:41]
	;; [unrolled: 1-line block ×6, first 2 shown]
	v_add_f64 v[48:49], v[76:77], v[26:27]
	v_mul_f64 v[26:27], v[34:35], s[14:15]
	v_mul_f64 v[68:69], v[124:125], s[22:23]
	;; [unrolled: 1-line block ×7, first 2 shown]
	v_accvgpr_write_b32 a101, v109
	v_accvgpr_write_b32 a102, v110
	;; [unrolled: 1-line block ×3, first 2 shown]
	v_add_f64 v[204:205], v[0:1], v[234:235]
	v_add_f64 v[206:207], v[2:3], v[232:233]
	v_fma_f64 v[0:1], v[32:33], s[26:27], -v[4:5]
	v_fmac_f64_e32 v[4:5], s[26:27], v[32:33]
	v_fma_f64 v[8:9], v[32:33], s[20:21], -v[12:13]
	v_fmac_f64_e32 v[12:13], s[20:21], v[32:33]
	;; [unrolled: 2-line block ×3, first 2 shown]
	v_fmac_f64_e32 v[24:25], s[12:13], v[32:33]
	v_fma_f64 v[56:57], v[32:33], s[18:19], -v[68:69]
	v_fmac_f64_e32 v[68:69], s[18:19], v[32:33]
	v_fma_f64 v[108:109], v[32:33], s[28:29], -v[120:121]
	;; [unrolled: 2-line block ×4, first 2 shown]
	v_add_f64 v[232:233], v[220:221], v[224:225]
	v_add_f64 v[220:221], v[220:221], -v[224:225]
	v_add_f64 v[228:229], v[78:79], v[32:33]
	v_add_f64 v[230:231], v[210:211], v[226:227]
	v_mul_f64 v[32:33], v[220:221], s[48:49]
	v_add_f64 v[0:1], v[76:77], v[0:1]
	v_fma_f64 v[126:127], s[36:37], v[54:55], v[34:35]
	v_add_f64 v[210:211], v[210:211], -v[226:227]
	v_fma_f64 v[34:35], v[230:231], s[20:21], -v[32:33]
	v_fma_f64 v[2:3], s[26:27], v[54:55], v[6:7]
	v_add_f64 v[4:5], v[76:77], v[4:5]
	v_fma_f64 v[6:7], v[54:55], s[26:27], -v[6:7]
	v_add_f64 v[0:1], v[34:35], v[0:1]
	v_mul_f64 v[34:35], v[210:211], s[48:49]
	v_fmac_f64_e32 v[32:33], s[20:21], v[230:231]
	v_add_f64 v[6:7], v[78:79], v[6:7]
	v_add_f64 v[4:5], v[32:33], v[4:5]
	v_fma_f64 v[32:33], v[232:233], s[20:21], -v[34:35]
	v_add_f64 v[6:7], v[32:33], v[6:7]
	v_mul_f64 v[32:33], v[220:221], s[46:47]
	v_add_f64 v[8:9], v[76:77], v[8:9]
	v_fma_f64 v[10:11], s[20:21], v[54:55], v[14:15]
	v_fma_f64 v[14:15], v[54:55], s[20:21], -v[14:15]
	v_fma_f64 v[18:19], s[16:17], v[54:55], v[22:23]
	v_fma_f64 v[22:23], v[54:55], s[16:17], -v[22:23]
	;; [unrolled: 2-line block ×6, first 2 shown]
	v_add_f64 v[12:13], v[76:77], v[12:13]
	v_add_f64 v[8:9], v[34:35], v[8:9]
	v_mul_f64 v[34:35], v[210:211], s[46:47]
	v_fmac_f64_e32 v[32:33], s[0:1], v[230:231]
	v_add_f64 v[14:15], v[78:79], v[14:15]
	v_add_f64 v[12:13], v[32:33], v[12:13]
	v_fma_f64 v[32:33], v[232:233], s[0:1], -v[34:35]
	v_add_f64 v[2:3], v[78:79], v[2:3]
	v_add_f64 v[14:15], v[32:33], v[14:15]
	v_mul_f64 v[32:33], v[220:221], s[22:23]
	v_add_f64 v[16:17], v[76:77], v[16:17]
	v_add_f64 v[2:3], v[54:55], v[2:3]
	v_fma_f64 v[54:55], s[0:1], v[232:233], v[34:35]
	v_fma_f64 v[34:35], v[230:231], s[18:19], -v[32:33]
	v_add_f64 v[10:11], v[78:79], v[10:11]
	v_add_f64 v[16:17], v[34:35], v[16:17]
	v_mul_f64 v[34:35], v[210:211], s[22:23]
	v_add_f64 v[18:19], v[78:79], v[18:19]
	v_add_f64 v[20:21], v[76:77], v[20:21]
	;; [unrolled: 1-line block ×3, first 2 shown]
	v_fma_f64 v[54:55], s[18:19], v[232:233], v[34:35]
	v_fmac_f64_e32 v[32:33], s[18:19], v[230:231]
	v_add_f64 v[22:23], v[78:79], v[22:23]
	v_add_f64 v[18:19], v[54:55], v[18:19]
	;; [unrolled: 1-line block ×3, first 2 shown]
	v_fma_f64 v[32:33], v[232:233], s[18:19], -v[34:35]
	v_mul_f64 v[54:55], v[220:221], s[42:43]
	v_add_f64 v[22:23], v[32:33], v[22:23]
	v_fma_f64 v[32:33], v[230:231], s[36:37], -v[54:55]
	v_fmac_f64_e32 v[54:55], s[36:37], v[230:231]
	v_add_f64 v[24:25], v[76:77], v[24:25]
	v_add_f64 v[56:57], v[76:77], v[56:57]
	;; [unrolled: 1-line block ×8, first 2 shown]
	v_mul_f64 v[76:77], v[210:211], s[42:43]
	v_add_f64 v[36:37], v[54:55], v[40:41]
	v_mul_f64 v[54:55], v[220:221], s[54:55]
	v_add_f64 v[38:39], v[78:79], v[38:39]
	v_fma_f64 v[34:35], s[36:37], v[232:233], v[76:77]
	v_fma_f64 v[40:41], v[230:231], s[28:29], -v[54:55]
	v_add_f64 v[34:35], v[34:35], v[38:39]
	v_fma_f64 v[38:39], v[232:233], s[36:37], -v[76:77]
	v_add_f64 v[40:41], v[40:41], v[48:49]
	v_mul_f64 v[48:49], v[210:211], s[54:55]
	v_fmac_f64_e32 v[54:55], s[28:29], v[230:231]
	v_add_f64 v[26:27], v[78:79], v[26:27]
	v_add_f64 v[38:39], v[38:39], v[46:47]
	v_fma_f64 v[46:47], s[28:29], v[232:233], v[48:49]
	v_add_f64 v[24:25], v[54:55], v[24:25]
	v_fma_f64 v[48:49], v[232:233], s[28:29], -v[48:49]
	v_mul_f64 v[54:55], v[220:221], s[52:53]
	v_add_f64 v[26:27], v[48:49], v[26:27]
	v_fma_f64 v[48:49], v[230:231], s[12:13], -v[54:55]
	v_add_f64 v[52:53], v[78:79], v[52:53]
	v_add_f64 v[48:49], v[48:49], v[56:57]
	v_mul_f64 v[56:57], v[210:211], s[52:53]
	v_add_f64 v[62:63], v[78:79], v[62:63]
	v_add_f64 v[46:47], v[46:47], v[52:53]
	v_fma_f64 v[52:53], s[12:13], v[232:233], v[56:57]
	v_mul_f64 v[76:77], v[220:221], s[24:25]
	v_add_f64 v[80:81], v[78:79], v[80:81]
	v_add_f64 v[110:111], v[78:79], v[110:111]
	;; [unrolled: 1-line block ×5, first 2 shown]
	v_fmac_f64_e32 v[54:55], s[12:13], v[230:231]
	v_fma_f64 v[62:63], v[230:231], s[16:17], -v[76:77]
	v_mul_f64 v[78:79], v[210:211], s[24:25]
	v_fmac_f64_e32 v[76:77], s[16:17], v[230:231]
	v_add_f64 v[54:55], v[54:55], v[68:69]
	v_fma_f64 v[68:69], s[16:17], v[232:233], v[78:79]
	v_add_f64 v[76:77], v[76:77], v[120:121]
	v_mul_f64 v[120:121], v[210:211], s[44:45]
	v_fma_f64 v[56:57], v[232:233], s[12:13], -v[56:57]
	v_add_f64 v[62:63], v[62:63], v[108:109]
	v_add_f64 v[68:69], v[68:69], v[110:111]
	v_mul_f64 v[110:111], v[220:221], s[44:45]
	v_fma_f64 v[108:109], s[26:27], v[232:233], v[120:121]
	v_add_f64 v[56:57], v[56:57], v[80:81]
	v_fma_f64 v[78:79], v[232:233], s[16:17], -v[78:79]
	v_fma_f64 v[80:81], v[230:231], s[26:27], -v[110:111]
	v_add_f64 v[108:109], v[108:109], v[126:127]
	v_add_f64 v[126:127], v[208:209], -v[216:217]
	v_add_f64 v[78:79], v[78:79], v[122:123]
	v_add_f64 v[80:81], v[80:81], v[124:125]
	;; [unrolled: 1-line block ×4, first 2 shown]
	v_mul_f64 v[208:209], v[126:127], s[50:51]
	v_add_f64 v[84:85], v[212:213], -v[84:85]
	v_fma_f64 v[210:211], v[122:123], s[16:17], -v[208:209]
	v_add_f64 v[0:1], v[210:211], v[0:1]
	v_mul_f64 v[210:211], v[84:85], s[50:51]
	v_fmac_f64_e32 v[208:209], s[16:17], v[122:123]
	v_add_f64 v[4:5], v[208:209], v[4:5]
	v_fma_f64 v[208:209], v[124:125], s[16:17], -v[210:211]
	v_add_f64 v[6:7], v[208:209], v[6:7]
	v_mul_f64 v[208:209], v[126:127], s[22:23]
	v_fma_f64 v[212:213], s[16:17], v[124:125], v[210:211]
	v_fma_f64 v[210:211], v[122:123], s[18:19], -v[208:209]
	v_add_f64 v[8:9], v[210:211], v[8:9]
	v_mul_f64 v[210:211], v[84:85], s[22:23]
	v_fmac_f64_e32 v[208:209], s[18:19], v[122:123]
	v_add_f64 v[12:13], v[208:209], v[12:13]
	v_fma_f64 v[208:209], v[124:125], s[18:19], -v[210:211]
	v_add_f64 v[14:15], v[208:209], v[14:15]
	v_mul_f64 v[208:209], v[126:127], s[58:59]
	v_add_f64 v[2:3], v[212:213], v[2:3]
	v_fma_f64 v[212:213], s[18:19], v[124:125], v[210:211]
	v_fma_f64 v[210:211], v[122:123], s[36:37], -v[208:209]
	v_add_f64 v[16:17], v[210:211], v[16:17]
	v_mul_f64 v[210:211], v[84:85], s[58:59]
	v_fmac_f64_e32 v[208:209], s[36:37], v[122:123]
	v_add_f64 v[20:21], v[208:209], v[20:21]
	v_fma_f64 v[208:209], v[124:125], s[36:37], -v[210:211]
	v_add_f64 v[22:23], v[208:209], v[22:23]
	v_mul_f64 v[208:209], v[126:127], s[52:53]
	v_add_f64 v[10:11], v[212:213], v[10:11]
	;; [unrolled: 10-line block ×5, first 2 shown]
	v_fma_f64 v[212:213], s[26:27], v[124:125], v[210:211]
	v_fma_f64 v[210:211], v[122:123], s[0:1], -v[208:209]
	v_add_f64 v[62:63], v[210:211], v[62:63]
	v_mul_f64 v[210:211], v[84:85], s[46:47]
	v_fmac_f64_e32 v[208:209], s[0:1], v[122:123]
	v_add_f64 v[76:77], v[208:209], v[76:77]
	v_fma_f64 v[208:209], v[124:125], s[0:1], -v[210:211]
	v_mul_f64 v[126:127], v[126:127], s[30:31]
	v_add_f64 v[78:79], v[208:209], v[78:79]
	v_fma_f64 v[208:209], v[122:123], s[28:29], -v[126:127]
	v_fmac_f64_e32 v[110:111], s[26:27], v[230:231]
	v_add_f64 v[80:81], v[208:209], v[80:81]
	v_mul_f64 v[208:209], v[84:85], s[30:31]
	v_add_f64 v[110:111], v[110:111], v[218:219]
	v_fma_f64 v[120:121], v[232:233], s[26:27], -v[120:121]
	v_fma_f64 v[84:85], s[28:29], v[124:125], v[208:209]
	v_fmac_f64_e32 v[126:127], s[28:29], v[122:123]
	v_add_f64 v[120:121], v[120:121], v[228:229]
	v_add_f64 v[84:85], v[84:85], v[108:109]
	;; [unrolled: 1-line block ×3, first 2 shown]
	v_fma_f64 v[110:111], v[124:125], s[28:29], -v[208:209]
	v_add_f64 v[126:127], v[172:173], -v[192:193]
	v_add_f64 v[110:111], v[110:111], v[120:121]
	v_add_f64 v[120:121], v[174:175], v[194:195]
	;; [unrolled: 1-line block ×3, first 2 shown]
	v_mul_f64 v[172:173], v[126:127], s[46:47]
	v_add_f64 v[52:53], v[212:213], v[52:53]
	v_fma_f64 v[212:213], s[0:1], v[124:125], v[210:211]
	v_add_f64 v[124:125], v[174:175], -v[194:195]
	v_fma_f64 v[174:175], v[120:121], s[0:1], -v[172:173]
	v_add_f64 v[0:1], v[174:175], v[0:1]
	v_mul_f64 v[174:175], v[124:125], s[46:47]
	v_fmac_f64_e32 v[172:173], s[0:1], v[120:121]
	v_add_f64 v[4:5], v[172:173], v[4:5]
	v_fma_f64 v[172:173], v[122:123], s[0:1], -v[174:175]
	v_add_f64 v[6:7], v[172:173], v[6:7]
	v_mul_f64 v[172:173], v[126:127], s[42:43]
	v_fma_f64 v[192:193], s[0:1], v[122:123], v[174:175]
	v_fma_f64 v[174:175], v[120:121], s[36:37], -v[172:173]
	v_add_f64 v[8:9], v[174:175], v[8:9]
	v_mul_f64 v[174:175], v[124:125], s[42:43]
	v_fmac_f64_e32 v[172:173], s[36:37], v[120:121]
	v_add_f64 v[12:13], v[172:173], v[12:13]
	v_fma_f64 v[172:173], v[122:123], s[36:37], -v[174:175]
	v_add_f64 v[14:15], v[172:173], v[14:15]
	v_mul_f64 v[172:173], v[126:127], s[52:53]
	v_add_f64 v[2:3], v[192:193], v[2:3]
	v_fma_f64 v[192:193], s[36:37], v[122:123], v[174:175]
	v_fma_f64 v[174:175], v[120:121], s[12:13], -v[172:173]
	v_add_f64 v[16:17], v[174:175], v[16:17]
	v_mul_f64 v[174:175], v[124:125], s[52:53]
	v_fmac_f64_e32 v[172:173], s[12:13], v[120:121]
	v_add_f64 v[20:21], v[172:173], v[20:21]
	v_fma_f64 v[172:173], v[122:123], s[12:13], -v[174:175]
	v_add_f64 v[22:23], v[172:173], v[22:23]
	v_mul_f64 v[172:173], v[126:127], s[44:45]
	v_add_f64 v[10:11], v[192:193], v[10:11]
	;; [unrolled: 10-line block ×5, first 2 shown]
	v_fma_f64 v[192:193], s[28:29], v[122:123], v[174:175]
	v_fma_f64 v[174:175], v[120:121], s[18:19], -v[172:173]
	v_add_f64 v[62:63], v[174:175], v[62:63]
	v_mul_f64 v[174:175], v[124:125], s[56:57]
	v_fmac_f64_e32 v[172:173], s[18:19], v[120:121]
	v_add_f64 v[76:77], v[172:173], v[76:77]
	v_fma_f64 v[172:173], v[122:123], s[18:19], -v[174:175]
	v_mul_f64 v[126:127], v[126:127], s[38:39]
	v_add_f64 v[78:79], v[172:173], v[78:79]
	v_fma_f64 v[172:173], v[120:121], s[20:21], -v[126:127]
	v_mul_f64 v[124:125], v[124:125], s[38:39]
	v_add_f64 v[52:53], v[192:193], v[52:53]
	v_fma_f64 v[192:193], s[18:19], v[122:123], v[174:175]
	v_add_f64 v[80:81], v[172:173], v[80:81]
	v_fma_f64 v[172:173], s[20:21], v[122:123], v[124:125]
	v_fmac_f64_e32 v[126:127], s[20:21], v[120:121]
	v_fma_f64 v[120:121], v[122:123], s[20:21], -v[124:125]
	v_add_f64 v[122:123], v[148:149], v[94:95]
	v_add_f64 v[94:95], v[148:149], -v[94:95]
	v_add_f64 v[110:111], v[120:121], v[110:111]
	v_add_f64 v[120:121], v[150:151], v[102:103]
	v_mul_f64 v[124:125], v[94:95], s[14:15]
	v_add_f64 v[108:109], v[126:127], v[108:109]
	v_add_f64 v[102:103], v[150:151], -v[102:103]
	v_fma_f64 v[126:127], v[120:121], s[12:13], -v[124:125]
	v_add_f64 v[0:1], v[126:127], v[0:1]
	v_mul_f64 v[126:127], v[102:103], s[14:15]
	v_fmac_f64_e32 v[124:125], s[12:13], v[120:121]
	v_add_f64 v[4:5], v[124:125], v[4:5]
	v_fma_f64 v[124:125], v[122:123], s[12:13], -v[126:127]
	v_add_f64 v[6:7], v[124:125], v[6:7]
	v_mul_f64 v[124:125], v[94:95], s[54:55]
	v_fma_f64 v[148:149], s[12:13], v[122:123], v[126:127]
	v_fma_f64 v[126:127], v[120:121], s[28:29], -v[124:125]
	v_add_f64 v[8:9], v[126:127], v[8:9]
	v_mul_f64 v[126:127], v[102:103], s[54:55]
	v_fmac_f64_e32 v[124:125], s[28:29], v[120:121]
	v_add_f64 v[12:13], v[124:125], v[12:13]
	v_fma_f64 v[124:125], v[122:123], s[28:29], -v[126:127]
	v_add_f64 v[14:15], v[124:125], v[14:15]
	v_mul_f64 v[124:125], v[94:95], s[38:39]
	v_add_f64 v[2:3], v[148:149], v[2:3]
	v_fma_f64 v[148:149], s[28:29], v[122:123], v[126:127]
	v_fma_f64 v[126:127], v[120:121], s[20:21], -v[124:125]
	v_add_f64 v[16:17], v[126:127], v[16:17]
	v_mul_f64 v[126:127], v[102:103], s[38:39]
	v_fmac_f64_e32 v[124:125], s[20:21], v[120:121]
	v_add_f64 v[20:21], v[124:125], v[20:21]
	v_fma_f64 v[124:125], v[122:123], s[20:21], -v[126:127]
	v_add_f64 v[22:23], v[124:125], v[22:23]
	v_mul_f64 v[124:125], v[94:95], s[50:51]
	v_add_f64 v[10:11], v[148:149], v[10:11]
	;; [unrolled: 10-line block ×4, first 2 shown]
	v_fma_f64 v[148:149], s[36:37], v[122:123], v[126:127]
	v_fma_f64 v[126:127], v[120:121], s[0:1], -v[124:125]
	v_add_f64 v[48:49], v[126:127], v[48:49]
	v_mul_f64 v[126:127], v[102:103], s[34:35]
	v_fmac_f64_e32 v[124:125], s[0:1], v[120:121]
	v_add_f64 v[54:55], v[124:125], v[54:55]
	v_fma_f64 v[124:125], v[122:123], s[0:1], -v[126:127]
	v_add_f64 v[174:175], v[144:145], v[92:93]
	v_add_f64 v[144:145], v[144:145], -v[92:93]
	v_add_f64 v[68:69], v[212:213], v[68:69]
	v_add_f64 v[84:85], v[172:173], v[84:85]
	;; [unrolled: 1-line block ×3, first 2 shown]
	v_mul_f64 v[124:125], v[94:95], s[40:41]
	v_add_f64 v[172:173], v[146:147], v[100:101]
	v_mul_f64 v[92:93], v[144:145], s[22:23]
	v_add_f64 v[68:69], v[192:193], v[68:69]
	v_add_f64 v[46:47], v[148:149], v[46:47]
	v_fma_f64 v[148:149], s[0:1], v[122:123], v[126:127]
	v_fma_f64 v[126:127], v[120:121], s[26:27], -v[124:125]
	v_add_f64 v[192:193], v[146:147], -v[100:101]
	v_fma_f64 v[100:101], v[172:173], s[18:19], -v[92:93]
	v_add_f64 v[62:63], v[126:127], v[62:63]
	v_mul_f64 v[126:127], v[102:103], s[40:41]
	v_fmac_f64_e32 v[124:125], s[26:27], v[120:121]
	v_add_f64 v[0:1], v[100:101], v[0:1]
	v_mul_f64 v[100:101], v[192:193], s[22:23]
	v_fmac_f64_e32 v[92:93], s[18:19], v[172:173]
	v_add_f64 v[76:77], v[124:125], v[76:77]
	v_fma_f64 v[124:125], v[122:123], s[26:27], -v[126:127]
	v_mul_f64 v[94:95], v[94:95], s[22:23]
	v_add_f64 v[4:5], v[92:93], v[4:5]
	v_fma_f64 v[92:93], v[174:175], s[18:19], -v[100:101]
	v_add_f64 v[78:79], v[124:125], v[78:79]
	v_fma_f64 v[124:125], v[120:121], s[18:19], -v[94:95]
	v_fmac_f64_e32 v[94:95], s[18:19], v[120:121]
	v_add_f64 v[6:7], v[92:93], v[6:7]
	v_mul_f64 v[92:93], v[144:145], s[52:53]
	v_add_f64 v[94:95], v[94:95], v[108:109]
	v_fma_f64 v[108:109], s[18:19], v[174:175], v[100:101]
	v_fma_f64 v[100:101], v[172:173], s[12:13], -v[92:93]
	v_add_f64 v[8:9], v[100:101], v[8:9]
	v_mul_f64 v[100:101], v[192:193], s[52:53]
	v_fmac_f64_e32 v[92:93], s[12:13], v[172:173]
	v_add_f64 v[12:13], v[92:93], v[12:13]
	v_fma_f64 v[92:93], v[174:175], s[12:13], -v[100:101]
	v_add_f64 v[14:15], v[92:93], v[14:15]
	v_mul_f64 v[92:93], v[144:145], s[40:41]
	v_add_f64 v[2:3], v[108:109], v[2:3]
	v_fma_f64 v[108:109], s[12:13], v[174:175], v[100:101]
	v_fma_f64 v[100:101], v[172:173], s[26:27], -v[92:93]
	v_add_f64 v[16:17], v[100:101], v[16:17]
	v_mul_f64 v[100:101], v[192:193], s[40:41]
	v_fmac_f64_e32 v[92:93], s[26:27], v[172:173]
	v_add_f64 v[20:21], v[92:93], v[20:21]
	v_fma_f64 v[92:93], v[174:175], s[26:27], -v[100:101]
	;; [unrolled: 10-line block ×3, first 2 shown]
	v_add_f64 v[18:19], v[108:109], v[18:19]
	v_fma_f64 v[108:109], s[28:29], v[174:175], v[100:101]
	v_add_f64 v[100:101], v[36:37], v[38:39]
	v_mul_f64 v[36:37], v[144:145], s[34:35]
	v_fma_f64 v[38:39], v[172:173], s[0:1], -v[36:37]
	v_add_f64 v[34:35], v[108:109], v[34:35]
	v_add_f64 v[108:109], v[38:39], v[40:41]
	v_mul_f64 v[38:39], v[192:193], s[34:35]
	v_fmac_f64_e32 v[36:37], s[0:1], v[172:173]
	v_add_f64 v[120:121], v[36:37], v[24:25]
	v_fma_f64 v[24:25], v[174:175], s[0:1], -v[38:39]
	v_add_f64 v[26:27], v[24:25], v[26:27]
	v_mul_f64 v[24:25], v[144:145], s[48:49]
	v_mul_f64 v[102:103], v[102:103], s[22:23]
	v_fma_f64 v[36:37], v[172:173], s[20:21], -v[24:25]
	v_add_f64 v[52:53], v[148:149], v[52:53]
	v_fma_f64 v[148:149], s[26:27], v[122:123], v[126:127]
	v_add_f64 v[80:81], v[124:125], v[80:81]
	v_fma_f64 v[124:125], s[18:19], v[122:123], v[102:103]
	v_fma_f64 v[102:103], v[122:123], s[18:19], -v[102:103]
	v_add_f64 v[122:123], v[36:37], v[48:49]
	v_mul_f64 v[36:37], v[192:193], s[48:49]
	v_fmac_f64_e32 v[24:25], s[20:21], v[172:173]
	v_add_f64 v[126:127], v[24:25], v[54:55]
	v_fma_f64 v[24:25], v[174:175], s[20:21], -v[36:37]
	v_add_f64 v[146:147], v[24:25], v[56:57]
	v_mul_f64 v[24:25], v[144:145], s[42:43]
	v_fma_f64 v[40:41], s[0:1], v[174:175], v[38:39]
	v_fma_f64 v[38:39], s[20:21], v[174:175], v[36:37]
	v_fma_f64 v[36:37], v[172:173], s[36:37], -v[24:25]
	v_add_f64 v[68:69], v[148:149], v[68:69]
	v_add_f64 v[148:149], v[36:37], v[62:63]
	v_mul_f64 v[36:37], v[192:193], s[42:43]
	v_fmac_f64_e32 v[24:25], s[36:37], v[172:173]
	v_add_f64 v[76:77], v[24:25], v[76:77]
	v_fma_f64 v[24:25], v[174:175], s[36:37], -v[36:37]
	v_add_f64 v[78:79], v[24:25], v[78:79]
	v_mul_f64 v[24:25], v[144:145], s[24:25]
	v_add_f64 v[84:85], v[124:125], v[84:85]
	v_add_f64 v[124:125], v[38:39], v[52:53]
	v_fma_f64 v[38:39], s[36:37], v[174:175], v[36:37]
	v_fma_f64 v[36:37], v[172:173], s[16:17], -v[24:25]
	v_add_f64 v[80:81], v[36:37], v[80:81]
	v_mul_f64 v[36:37], v[192:193], s[24:25]
	v_fmac_f64_e32 v[24:25], s[16:17], v[172:173]
	v_add_f64 v[194:195], v[118:119], v[98:99]
	v_add_f64 v[98:99], v[118:119], -v[98:99]
	v_add_f64 v[102:103], v[102:103], v[110:111]
	v_add_f64 v[150:151], v[38:39], v[68:69]
	v_fma_f64 v[38:39], s[16:17], v[174:175], v[36:37]
	v_add_f64 v[94:95], v[24:25], v[94:95]
	v_fma_f64 v[24:25], v[174:175], s[16:17], -v[36:37]
	v_add_f64 v[192:193], v[136:137], v[138:139]
	v_mul_f64 v[36:37], v[98:99], s[30:31]
	v_add_f64 v[172:173], v[24:25], v[102:103]
	v_add_f64 v[208:209], v[136:137], -v[138:139]
	v_fma_f64 v[24:25], v[192:193], s[28:29], -v[36:37]
	v_add_f64 v[174:175], v[24:25], v[0:1]
	v_mul_f64 v[0:1], v[208:209], s[30:31]
	v_fma_f64 v[24:25], s[28:29], v[194:195], v[0:1]
	v_fma_f64 v[0:1], v[194:195], s[28:29], -v[0:1]
	v_add_f64 v[110:111], v[40:41], v[46:47]
	v_add_f64 v[46:47], v[0:1], v[6:7]
	v_mul_f64 v[0:1], v[98:99], s[24:25]
	v_add_f64 v[24:25], v[24:25], v[2:3]
	v_fma_f64 v[2:3], v[192:193], s[16:17], -v[0:1]
	v_add_f64 v[40:41], v[2:3], v[8:9]
	v_mul_f64 v[2:3], v[208:209], s[24:25]
	v_fmac_f64_e32 v[0:1], s[16:17], v[192:193]
	v_fmac_f64_e32 v[36:37], s[28:29], v[192:193]
	v_add_f64 v[62:63], v[0:1], v[12:13]
	v_fma_f64 v[0:1], v[194:195], s[16:17], -v[2:3]
	v_add_f64 v[48:49], v[36:37], v[4:5]
	v_add_f64 v[36:37], v[0:1], v[14:15]
	v_mul_f64 v[0:1], v[98:99], s[46:47]
	v_fma_f64 v[4:5], s[16:17], v[194:195], v[2:3]
	v_fma_f64 v[2:3], v[192:193], s[0:1], -v[0:1]
	v_add_f64 v[56:57], v[2:3], v[16:17]
	v_mul_f64 v[2:3], v[208:209], s[46:47]
	v_fmac_f64_e32 v[0:1], s[0:1], v[192:193]
	v_add_f64 v[68:69], v[0:1], v[20:21]
	v_fma_f64 v[0:1], v[194:195], s[0:1], -v[2:3]
	v_add_f64 v[52:53], v[0:1], v[22:23]
	v_mul_f64 v[0:1], v[98:99], s[56:57]
	v_add_f64 v[84:85], v[38:39], v[84:85]
	v_add_f64 v[38:39], v[4:5], v[10:11]
	v_fma_f64 v[4:5], s[0:1], v[194:195], v[2:3]
	v_fma_f64 v[2:3], v[192:193], s[18:19], -v[0:1]
	v_add_f64 v[144:145], v[2:3], v[32:33]
	v_mul_f64 v[2:3], v[208:209], s[56:57]
	v_fmac_f64_e32 v[0:1], s[18:19], v[192:193]
	v_add_f64 v[136:137], v[0:1], v[92:93]
	v_fma_f64 v[0:1], v[194:195], s[18:19], -v[2:3]
	v_add_f64 v[118:119], v[0:1], v[100:101]
	v_mul_f64 v[0:1], v[98:99], s[40:41]
	v_add_f64 v[54:55], v[4:5], v[18:19]
	v_fma_f64 v[4:5], s[18:19], v[194:195], v[2:3]
	v_fma_f64 v[2:3], v[192:193], s[26:27], -v[0:1]
	v_add_f64 v[102:103], v[2:3], v[108:109]
	v_mul_f64 v[2:3], v[208:209], s[40:41]
	v_add_f64 v[138:139], v[4:5], v[34:35]
	v_fma_f64 v[4:5], s[26:27], v[194:195], v[2:3]
	v_fma_f64 v[2:3], v[194:195], s[26:27], -v[2:3]
	v_add_f64 v[2:3], v[2:3], v[26:27]
	v_mul_f64 v[18:19], v[208:209], s[38:39]
	v_mul_f64 v[26:27], v[98:99], s[14:15]
	;; [unrolled: 1-line block ×3, first 2 shown]
	v_fma_f64 v[14:15], s[20:21], v[194:195], v[18:19]
	v_fma_f64 v[18:19], v[194:195], s[20:21], -v[18:19]
	v_fma_f64 v[20:21], v[192:193], s[12:13], -v[26:27]
	v_mul_f64 v[32:33], v[208:209], s[14:15]
	v_fmac_f64_e32 v[26:27], s[12:13], v[192:193]
	v_fma_f64 v[12:13], v[192:193], s[20:21], -v[16:17]
	v_fmac_f64_e32 v[16:17], s[20:21], v[192:193]
	v_add_f64 v[18:19], v[18:19], v[78:79]
	v_add_f64 v[78:79], v[26:27], v[94:95]
	v_fma_f64 v[26:27], v[194:195], s[12:13], -v[32:33]
	v_add_f64 v[92:93], v[112:113], v[96:97]
	v_add_f64 v[96:97], v[112:113], -v[96:97]
	v_add_f64 v[16:17], v[16:17], v[76:77]
	v_add_f64 v[76:77], v[26:27], v[172:173]
	;; [unrolled: 1-line block ×3, first 2 shown]
	v_mul_f64 v[26:27], v[96:97], s[42:43]
	v_mul_f64 v[8:9], v[98:99], s[42:43]
	v_fma_f64 v[22:23], s[12:13], v[194:195], v[32:33]
	v_add_f64 v[98:99], v[114:115], -v[116:117]
	v_fma_f64 v[32:33], v[94:95], s[36:37], -v[26:27]
	v_add_f64 v[132:133], v[32:33], v[174:175]
	v_mul_f64 v[32:33], v[98:99], s[42:43]
	v_fma_f64 v[34:35], s[36:37], v[92:93], v[32:33]
	v_add_f64 v[134:135], v[34:35], v[24:25]
	v_fma_f64 v[24:25], v[92:93], s[36:37], -v[32:33]
	v_mul_f64 v[10:11], v[208:209], s[42:43]
	v_fmac_f64_e32 v[26:27], s[36:37], v[94:95]
	v_add_f64 v[130:131], v[24:25], v[46:47]
	v_mul_f64 v[24:25], v[96:97], s[44:45]
	v_fma_f64 v[6:7], s[36:37], v[194:195], v[10:11]
	v_add_f64 v[128:129], v[26:27], v[48:49]
	v_fma_f64 v[26:27], v[94:95], s[26:27], -v[24:25]
	v_add_f64 v[6:7], v[6:7], v[124:125]
	v_add_f64 v[124:125], v[26:27], v[40:41]
	v_mul_f64 v[26:27], v[98:99], s[44:45]
	v_fmac_f64_e32 v[24:25], s[26:27], v[94:95]
	v_add_f64 v[224:225], v[24:25], v[62:63]
	v_fma_f64 v[24:25], v[92:93], s[26:27], -v[26:27]
	v_add_f64 v[226:227], v[24:25], v[36:37]
	v_mul_f64 v[24:25], v[96:97], s[30:31]
	v_fma_f64 v[32:33], s[26:27], v[92:93], v[26:27]
	v_fma_f64 v[26:27], v[94:95], s[28:29], -v[24:25]
	v_add_f64 v[228:229], v[26:27], v[56:57]
	v_mul_f64 v[26:27], v[98:99], s[30:31]
	v_fmac_f64_e32 v[24:25], s[28:29], v[94:95]
	v_add_f64 v[236:237], v[24:25], v[68:69]
	v_fma_f64 v[24:25], v[92:93], s[28:29], -v[26:27]
	v_add_f64 v[100:101], v[4:5], v[110:111]
	v_fma_f64 v[4:5], v[192:193], s[36:37], -v[8:9]
	v_fmac_f64_e32 v[8:9], s[36:37], v[192:193]
	v_add_f64 v[238:239], v[24:25], v[52:53]
	v_mul_f64 v[24:25], v[96:97], s[38:39]
	v_add_f64 v[8:9], v[8:9], v[126:127]
	v_add_f64 v[126:127], v[32:33], v[38:39]
	v_fma_f64 v[32:33], s[28:29], v[92:93], v[26:27]
	v_fma_f64 v[26:27], v[94:95], s[20:21], -v[24:25]
	v_add_f64 v[240:241], v[26:27], v[144:145]
	v_mul_f64 v[26:27], v[98:99], s[38:39]
	v_fmac_f64_e32 v[24:25], s[20:21], v[94:95]
	v_add_f64 v[244:245], v[24:25], v[136:137]
	v_fma_f64 v[24:25], v[92:93], s[20:21], -v[26:27]
	v_add_f64 v[246:247], v[24:25], v[118:119]
	v_mul_f64 v[24:25], v[96:97], s[22:23]
	v_fmac_f64_e32 v[0:1], s[26:27], v[192:193]
	v_add_f64 v[230:231], v[32:33], v[54:55]
	v_fma_f64 v[32:33], s[20:21], v[92:93], v[26:27]
	v_fma_f64 v[26:27], v[94:95], s[18:19], -v[24:25]
	v_add_f64 v[0:1], v[0:1], v[120:121]
	v_add_f64 v[248:249], v[26:27], v[102:103]
	v_mul_f64 v[26:27], v[98:99], s[22:23]
	v_fmac_f64_e32 v[24:25], s[18:19], v[94:95]
	v_add_f64 v[120:121], v[24:25], v[0:1]
	v_fma_f64 v[24:25], v[92:93], s[18:19], -v[26:27]
	v_add_f64 v[4:5], v[4:5], v[122:123]
	v_add_f64 v[122:123], v[24:25], v[2:3]
	v_mul_f64 v[24:25], v[96:97], s[24:25]
	v_add_f64 v[242:243], v[32:33], v[138:139]
	v_fma_f64 v[32:33], s[18:19], v[92:93], v[26:27]
	v_fma_f64 v[26:27], v[94:95], s[16:17], -v[24:25]
	v_fma_f64 v[10:11], v[194:195], s[36:37], -v[10:11]
	v_add_f64 v[108:109], v[26:27], v[4:5]
	v_mul_f64 v[26:27], v[98:99], s[24:25]
	v_fmac_f64_e32 v[24:25], s[16:17], v[94:95]
	v_add_f64 v[10:11], v[10:11], v[146:147]
	v_add_f64 v[8:9], v[24:25], v[8:9]
	v_fma_f64 v[24:25], v[92:93], s[16:17], -v[26:27]
	v_add_f64 v[10:11], v[24:25], v[10:11]
	v_mul_f64 v[24:25], v[96:97], s[14:15]
	v_add_f64 v[12:13], v[12:13], v[148:149]
	v_add_f64 v[250:251], v[32:33], v[100:101]
	v_fma_f64 v[32:33], s[16:17], v[92:93], v[26:27]
	v_fma_f64 v[26:27], v[94:95], s[12:13], -v[24:25]
	v_add_f64 v[12:13], v[26:27], v[12:13]
	v_mul_f64 v[26:27], v[98:99], s[14:15]
	v_fmac_f64_e32 v[24:25], s[12:13], v[94:95]
	v_add_f64 v[16:17], v[24:25], v[16:17]
	v_fma_f64 v[24:25], v[92:93], s[12:13], -v[26:27]
	v_add_f64 v[18:19], v[24:25], v[18:19]
	v_mul_f64 v[24:25], v[96:97], s[34:35]
	v_add_f64 v[20:21], v[20:21], v[80:81]
	v_add_f64 v[110:111], v[32:33], v[6:7]
	v_fma_f64 v[32:33], s[12:13], v[92:93], v[26:27]
	v_fma_f64 v[26:27], v[94:95], s[0:1], -v[24:25]
	v_add_f64 v[14:15], v[14:15], v[150:151]
	v_add_f64 v[20:21], v[26:27], v[20:21]
	v_mul_f64 v[26:27], v[98:99], s[34:35]
	v_fmac_f64_e32 v[24:25], s[0:1], v[94:95]
	v_accvgpr_read_b32 v0, a8
	v_accvgpr_read_b32 v2, a36
	v_add_f64 v[22:23], v[22:23], v[84:85]
	v_add_f64 v[14:15], v[32:33], v[14:15]
	v_fma_f64 v[32:33], s[0:1], v[92:93], v[26:27]
	v_add_f64 v[252:253], v[24:25], v[78:79]
	v_fma_f64 v[24:25], v[92:93], s[0:1], -v[26:27]
	v_accvgpr_read_b32 v1, a9
	v_accvgpr_read_b32 v3, a37
	v_add_f64 v[34:35], v[70:71], -v[90:91]
	v_add_f64 v[22:23], v[32:33], v[22:23]
	v_add_f64 v[254:255], v[24:25], v[76:77]
	;; [unrolled: 1-line block ×3, first 2 shown]
	v_add_f64 v[32:33], v[0:1], -v[2:3]
	v_mul_f64 v[80:81], v[34:35], s[46:47]
	v_add_f64 v[26:27], v[70:71], v[90:91]
	v_fma_f64 v[78:79], v[24:25], s[0:1], -v[80:81]
	v_mul_f64 v[84:85], v[32:33], s[46:47]
	v_fmac_f64_e32 v[80:81], s[0:1], v[24:25]
	v_add_f64 v[94:95], v[104:105], v[80:81]
	v_fma_f64 v[80:81], v[26:27], s[0:1], -v[84:85]
	v_add_f64 v[96:97], v[106:107], v[80:81]
	v_mul_f64 v[80:81], v[34:35], s[14:15]
	v_fma_f64 v[92:93], s[0:1], v[26:27], v[84:85]
	v_fma_f64 v[84:85], v[24:25], s[12:13], -v[80:81]
	v_add_f64 v[98:99], v[104:105], v[84:85]
	v_mul_f64 v[84:85], v[32:33], s[14:15]
	v_fmac_f64_e32 v[80:81], s[12:13], v[24:25]
	v_add_f64 v[102:103], v[104:105], v[80:81]
	v_fma_f64 v[80:81], v[26:27], s[12:13], -v[84:85]
	v_add_f64 v[112:113], v[106:107], v[80:81]
	v_mul_f64 v[80:81], v[34:35], s[22:23]
	v_fma_f64 v[100:101], s[12:13], v[26:27], v[84:85]
	v_fma_f64 v[84:85], v[24:25], s[18:19], -v[80:81]
	v_add_f64 v[114:115], v[104:105], v[84:85]
	;; [unrolled: 9-line block ×3, first 2 shown]
	v_mul_f64 v[84:85], v[32:33], s[30:31]
	v_fmac_f64_e32 v[80:81], s[28:29], v[24:25]
	v_mul_f64 v[38:39], v[34:35], s[40:41]
	v_mul_f64 v[52:53], v[34:35], s[48:49]
	;; [unrolled: 1-line block ×3, first 2 shown]
	v_add_f64 v[146:147], v[104:105], v[80:81]
	v_fma_f64 v[80:81], v[26:27], s[28:29], -v[84:85]
	v_mul_f64 v[34:35], v[34:35], s[42:43]
	v_mul_f64 v[40:41], v[32:33], s[40:41]
	;; [unrolled: 1-line block ×4, first 2 shown]
	v_add_f64 v[148:149], v[106:107], v[80:81]
	v_fma_f64 v[80:81], v[24:25], s[36:37], -v[34:35]
	v_mul_f64 v[32:33], v[32:33], s[42:43]
	v_fmac_f64_e32 v[34:35], s[36:37], v[24:25]
	v_accvgpr_read_b32 v0, a10
	v_accvgpr_read_b32 v2, a34
	v_fma_f64 v[36:37], v[24:25], s[26:27], -v[38:39]
	v_fmac_f64_e32 v[38:39], s[26:27], v[24:25]
	v_fma_f64 v[46:47], v[24:25], s[20:21], -v[52:53]
	v_fmac_f64_e32 v[52:53], s[20:21], v[24:25]
	;; [unrolled: 2-line block ×3, first 2 shown]
	v_add_f64 v[150:151], v[104:105], v[80:81]
	v_fma_f64 v[80:81], s[36:37], v[26:27], v[32:33]
	v_add_f64 v[174:175], v[104:105], v[34:35]
	v_fma_f64 v[24:25], v[26:27], s[36:37], -v[32:33]
	v_accvgpr_read_b32 v1, a11
	v_accvgpr_read_b32 v3, a35
	v_add_f64 v[34:35], v[72:73], -v[88:89]
	v_add_f64 v[172:173], v[106:107], v[80:81]
	v_add_f64 v[192:193], v[106:107], v[24:25]
	;; [unrolled: 1-line block ×3, first 2 shown]
	v_mul_f64 v[80:81], v[34:35], s[48:49]
	v_add_f64 v[194:195], v[104:105], v[36:37]
	v_fma_f64 v[144:145], s[28:29], v[26:27], v[84:85]
	v_add_f64 v[32:33], v[0:1], -v[2:3]
	v_fma_f64 v[84:85], v[24:25], s[20:21], -v[80:81]
	v_fma_f64 v[36:37], s[26:27], v[26:27], v[40:41]
	v_add_f64 v[38:39], v[104:105], v[38:39]
	v_fma_f64 v[40:41], v[26:27], s[26:27], -v[40:41]
	v_fma_f64 v[48:49], s[20:21], v[26:27], v[54:55]
	v_fma_f64 v[54:55], v[26:27], s[20:21], -v[54:55]
	v_fma_f64 v[62:63], s[16:17], v[26:27], v[76:77]
	v_fma_f64 v[76:77], v[26:27], s[16:17], -v[76:77]
	v_add_f64 v[26:27], v[72:73], v[88:89]
	v_add_f64 v[194:195], v[84:85], v[194:195]
	v_mul_f64 v[84:85], v[32:33], s[48:49]
	v_fmac_f64_e32 v[80:81], s[20:21], v[24:25]
	v_add_f64 v[40:41], v[106:107], v[40:41]
	v_add_f64 v[38:39], v[80:81], v[38:39]
	v_fma_f64 v[80:81], v[26:27], s[20:21], -v[84:85]
	v_add_f64 v[40:41], v[80:81], v[40:41]
	v_mul_f64 v[80:81], v[34:35], s[46:47]
	v_add_f64 v[46:47], v[104:105], v[46:47]
	v_fma_f64 v[208:209], s[20:21], v[26:27], v[84:85]
	v_fma_f64 v[84:85], v[24:25], s[0:1], -v[80:81]
	v_add_f64 v[52:53], v[104:105], v[52:53]
	v_add_f64 v[46:47], v[84:85], v[46:47]
	v_mul_f64 v[84:85], v[32:33], s[46:47]
	v_fmac_f64_e32 v[80:81], s[0:1], v[24:25]
	v_add_f64 v[54:55], v[106:107], v[54:55]
	v_add_f64 v[52:53], v[80:81], v[52:53]
	v_fma_f64 v[80:81], v[26:27], s[0:1], -v[84:85]
	v_add_f64 v[36:37], v[106:107], v[36:37]
	v_add_f64 v[54:55], v[80:81], v[54:55]
	v_mul_f64 v[80:81], v[34:35], s[22:23]
	v_add_f64 v[56:57], v[104:105], v[56:57]
	v_add_f64 v[36:37], v[208:209], v[36:37]
	v_fma_f64 v[208:209], s[0:1], v[26:27], v[84:85]
	v_fma_f64 v[84:85], v[24:25], s[18:19], -v[80:81]
	v_add_f64 v[68:69], v[104:105], v[68:69]
	v_add_f64 v[56:57], v[84:85], v[56:57]
	v_mul_f64 v[84:85], v[32:33], s[22:23]
	v_fmac_f64_e32 v[80:81], s[18:19], v[24:25]
	v_add_f64 v[76:77], v[106:107], v[76:77]
	v_add_f64 v[68:69], v[80:81], v[68:69]
	v_fma_f64 v[80:81], v[26:27], s[18:19], -v[84:85]
	v_add_f64 v[48:49], v[106:107], v[48:49]
	v_add_f64 v[76:77], v[80:81], v[76:77]
	v_mul_f64 v[80:81], v[34:35], s[42:43]
	v_add_f64 v[78:79], v[104:105], v[78:79]
	v_add_f64 v[48:49], v[208:209], v[48:49]
	v_fma_f64 v[208:209], s[18:19], v[26:27], v[84:85]
	v_fma_f64 v[84:85], v[24:25], s[36:37], -v[80:81]
	v_add_f64 v[78:79], v[84:85], v[78:79]
	v_mul_f64 v[84:85], v[32:33], s[42:43]
	v_fmac_f64_e32 v[80:81], s[36:37], v[24:25]
	v_add_f64 v[94:95], v[80:81], v[94:95]
	v_fma_f64 v[80:81], v[26:27], s[36:37], -v[84:85]
	v_add_f64 v[62:63], v[106:107], v[62:63]
	v_add_f64 v[96:97], v[80:81], v[96:97]
	v_mul_f64 v[80:81], v[34:35], s[54:55]
	v_add_f64 v[62:63], v[208:209], v[62:63]
	v_fma_f64 v[208:209], s[36:37], v[26:27], v[84:85]
	v_fma_f64 v[84:85], v[24:25], s[28:29], -v[80:81]
	v_add_f64 v[98:99], v[84:85], v[98:99]
	v_mul_f64 v[84:85], v[32:33], s[54:55]
	v_fmac_f64_e32 v[80:81], s[28:29], v[24:25]
	v_add_f64 v[102:103], v[80:81], v[102:103]
	v_fma_f64 v[80:81], v[26:27], s[28:29], -v[84:85]
	v_add_f64 v[92:93], v[106:107], v[92:93]
	v_add_f64 v[112:113], v[80:81], v[112:113]
	v_mul_f64 v[80:81], v[34:35], s[52:53]
	;; [unrolled: 11-line block ×3, first 2 shown]
	v_add_f64 v[100:101], v[208:209], v[100:101]
	v_fma_f64 v[208:209], s[12:13], v[26:27], v[84:85]
	v_fma_f64 v[84:85], v[24:25], s[16:17], -v[80:81]
	v_add_f64 v[138:139], v[84:85], v[138:139]
	v_mul_f64 v[84:85], v[32:33], s[24:25]
	v_fmac_f64_e32 v[80:81], s[16:17], v[24:25]
	v_add_f64 v[146:147], v[80:81], v[146:147]
	v_fma_f64 v[80:81], v[26:27], s[16:17], -v[84:85]
	v_mul_f64 v[34:35], v[34:35], s[44:45]
	v_add_f64 v[148:149], v[80:81], v[148:149]
	v_fma_f64 v[80:81], v[24:25], s[26:27], -v[34:35]
	v_mul_f64 v[32:33], v[32:33], s[44:45]
	v_fmac_f64_e32 v[34:35], s[26:27], v[24:25]
	v_accvgpr_read_b32 v0, a16
	v_accvgpr_read_b32 v2, a32
	v_add_f64 v[150:151], v[80:81], v[150:151]
	v_fma_f64 v[80:81], s[26:27], v[26:27], v[32:33]
	v_add_f64 v[174:175], v[34:35], v[174:175]
	v_fma_f64 v[24:25], v[26:27], s[26:27], -v[32:33]
	v_accvgpr_read_b32 v1, a17
	v_accvgpr_read_b32 v3, a33
	v_add_f64 v[34:35], v[58:59], -v[86:87]
	v_add_f64 v[116:117], v[106:107], v[116:117]
	v_add_f64 v[172:173], v[80:81], v[172:173]
	v_add_f64 v[192:193], v[24:25], v[192:193]
	v_add_f64 v[24:25], v[0:1], v[2:3]
	v_mul_f64 v[80:81], v[34:35], s[50:51]
	v_add_f64 v[116:117], v[208:209], v[116:117]
	v_fma_f64 v[208:209], s[16:17], v[26:27], v[84:85]
	v_add_f64 v[32:33], v[0:1], -v[2:3]
	v_fma_f64 v[84:85], v[24:25], s[16:17], -v[80:81]
	v_add_f64 v[26:27], v[58:59], v[86:87]
	v_add_f64 v[194:195], v[84:85], v[194:195]
	v_mul_f64 v[84:85], v[32:33], s[50:51]
	v_fmac_f64_e32 v[80:81], s[16:17], v[24:25]
	v_add_f64 v[38:39], v[80:81], v[38:39]
	v_fma_f64 v[80:81], v[26:27], s[16:17], -v[84:85]
	v_add_f64 v[144:145], v[106:107], v[144:145]
	v_add_f64 v[40:41], v[80:81], v[40:41]
	v_mul_f64 v[80:81], v[34:35], s[22:23]
	v_add_f64 v[144:145], v[208:209], v[144:145]
	v_fma_f64 v[208:209], s[16:17], v[26:27], v[84:85]
	v_fma_f64 v[84:85], v[24:25], s[18:19], -v[80:81]
	v_add_f64 v[46:47], v[84:85], v[46:47]
	v_mul_f64 v[84:85], v[32:33], s[22:23]
	v_fmac_f64_e32 v[80:81], s[18:19], v[24:25]
	v_add_f64 v[52:53], v[80:81], v[52:53]
	v_fma_f64 v[80:81], v[26:27], s[18:19], -v[84:85]
	v_add_f64 v[54:55], v[80:81], v[54:55]
	v_mul_f64 v[80:81], v[34:35], s[58:59]
	v_add_f64 v[36:37], v[208:209], v[36:37]
	v_fma_f64 v[208:209], s[18:19], v[26:27], v[84:85]
	v_fma_f64 v[84:85], v[24:25], s[36:37], -v[80:81]
	v_add_f64 v[56:57], v[84:85], v[56:57]
	v_mul_f64 v[84:85], v[32:33], s[58:59]
	v_fmac_f64_e32 v[80:81], s[36:37], v[24:25]
	v_add_f64 v[68:69], v[80:81], v[68:69]
	v_fma_f64 v[80:81], v[26:27], s[36:37], -v[84:85]
	;; [unrolled: 10-line block ×6, first 2 shown]
	v_mul_f64 v[34:35], v[34:35], s[30:31]
	v_add_f64 v[148:149], v[80:81], v[148:149]
	v_fma_f64 v[80:81], v[24:25], s[28:29], -v[34:35]
	v_mul_f64 v[32:33], v[32:33], s[30:31]
	v_fmac_f64_e32 v[34:35], s[28:29], v[24:25]
	v_accvgpr_read_b32 v0, a18
	v_accvgpr_read_b32 v2, a30
	v_add_f64 v[150:151], v[80:81], v[150:151]
	v_fma_f64 v[80:81], s[28:29], v[26:27], v[32:33]
	v_add_f64 v[174:175], v[34:35], v[174:175]
	v_fma_f64 v[24:25], v[26:27], s[28:29], -v[32:33]
	v_accvgpr_read_b32 v1, a19
	v_accvgpr_read_b32 v3, a31
	v_add_f64 v[34:35], v[60:61], -v[82:83]
	v_add_f64 v[172:173], v[80:81], v[172:173]
	v_add_f64 v[192:193], v[24:25], v[192:193]
	;; [unrolled: 1-line block ×3, first 2 shown]
	v_mul_f64 v[80:81], v[34:35], s[46:47]
	v_add_f64 v[116:117], v[208:209], v[116:117]
	v_fma_f64 v[208:209], s[0:1], v[26:27], v[84:85]
	v_add_f64 v[32:33], v[0:1], -v[2:3]
	v_fma_f64 v[84:85], v[24:25], s[0:1], -v[80:81]
	v_add_f64 v[26:27], v[60:61], v[82:83]
	v_add_f64 v[194:195], v[84:85], v[194:195]
	v_mul_f64 v[84:85], v[32:33], s[46:47]
	v_fmac_f64_e32 v[80:81], s[0:1], v[24:25]
	v_add_f64 v[38:39], v[80:81], v[38:39]
	v_fma_f64 v[80:81], v[26:27], s[0:1], -v[84:85]
	v_add_f64 v[40:41], v[80:81], v[40:41]
	v_mul_f64 v[80:81], v[34:35], s[42:43]
	v_add_f64 v[144:145], v[208:209], v[144:145]
	v_fma_f64 v[208:209], s[0:1], v[26:27], v[84:85]
	v_fma_f64 v[84:85], v[24:25], s[36:37], -v[80:81]
	v_add_f64 v[46:47], v[84:85], v[46:47]
	v_mul_f64 v[84:85], v[32:33], s[42:43]
	v_fmac_f64_e32 v[80:81], s[36:37], v[24:25]
	v_add_f64 v[52:53], v[80:81], v[52:53]
	v_fma_f64 v[80:81], v[26:27], s[36:37], -v[84:85]
	v_add_f64 v[54:55], v[80:81], v[54:55]
	v_mul_f64 v[80:81], v[34:35], s[52:53]
	v_add_f64 v[36:37], v[208:209], v[36:37]
	v_fma_f64 v[208:209], s[36:37], v[26:27], v[84:85]
	v_fma_f64 v[84:85], v[24:25], s[12:13], -v[80:81]
	;; [unrolled: 10-line block ×6, first 2 shown]
	v_add_f64 v[138:139], v[84:85], v[138:139]
	v_mul_f64 v[84:85], v[32:33], s[56:57]
	v_fmac_f64_e32 v[80:81], s[18:19], v[24:25]
	v_add_f64 v[146:147], v[80:81], v[146:147]
	v_fma_f64 v[80:81], v[26:27], s[18:19], -v[84:85]
	v_mul_f64 v[34:35], v[34:35], s[38:39]
	v_add_f64 v[148:149], v[80:81], v[148:149]
	v_fma_f64 v[80:81], v[24:25], s[20:21], -v[34:35]
	v_mul_f64 v[32:33], v[32:33], s[38:39]
	v_fmac_f64_e32 v[34:35], s[20:21], v[24:25]
	v_accvgpr_read_b32 v0, a20
	v_accvgpr_read_b32 v2, a28
	v_add_f64 v[150:151], v[80:81], v[150:151]
	v_fma_f64 v[80:81], s[20:21], v[26:27], v[32:33]
	v_add_f64 v[174:175], v[34:35], v[174:175]
	v_fma_f64 v[24:25], v[26:27], s[20:21], -v[32:33]
	v_accvgpr_read_b32 v1, a21
	v_accvgpr_read_b32 v3, a29
	v_add_f64 v[34:35], v[64:65], -v[30:31]
	v_add_f64 v[172:173], v[80:81], v[172:173]
	v_add_f64 v[192:193], v[24:25], v[192:193]
	v_add_f64 v[24:25], v[0:1], v[2:3]
	v_mul_f64 v[80:81], v[34:35], s[14:15]
	v_add_f64 v[116:117], v[208:209], v[116:117]
	v_fma_f64 v[208:209], s[18:19], v[26:27], v[84:85]
	v_add_f64 v[32:33], v[0:1], -v[2:3]
	v_fma_f64 v[84:85], v[24:25], s[12:13], -v[80:81]
	v_add_f64 v[26:27], v[64:65], v[30:31]
	v_add_f64 v[194:195], v[84:85], v[194:195]
	v_mul_f64 v[84:85], v[32:33], s[14:15]
	v_fmac_f64_e32 v[80:81], s[12:13], v[24:25]
	v_add_f64 v[38:39], v[80:81], v[38:39]
	v_fma_f64 v[80:81], v[26:27], s[12:13], -v[84:85]
	v_add_f64 v[40:41], v[80:81], v[40:41]
	v_mul_f64 v[80:81], v[34:35], s[54:55]
	v_add_f64 v[144:145], v[208:209], v[144:145]
	v_fma_f64 v[208:209], s[12:13], v[26:27], v[84:85]
	v_fma_f64 v[84:85], v[24:25], s[28:29], -v[80:81]
	v_add_f64 v[46:47], v[84:85], v[46:47]
	v_mul_f64 v[84:85], v[32:33], s[54:55]
	v_fmac_f64_e32 v[80:81], s[28:29], v[24:25]
	v_add_f64 v[52:53], v[80:81], v[52:53]
	v_fma_f64 v[80:81], v[26:27], s[28:29], -v[84:85]
	v_add_f64 v[54:55], v[80:81], v[54:55]
	v_mul_f64 v[80:81], v[34:35], s[38:39]
	v_add_f64 v[36:37], v[208:209], v[36:37]
	v_fma_f64 v[208:209], s[28:29], v[26:27], v[84:85]
	v_fma_f64 v[84:85], v[24:25], s[20:21], -v[80:81]
	;; [unrolled: 10-line block ×6, first 2 shown]
	v_add_f64 v[138:139], v[84:85], v[138:139]
	v_mul_f64 v[84:85], v[32:33], s[40:41]
	v_fmac_f64_e32 v[80:81], s[26:27], v[24:25]
	v_add_f64 v[146:147], v[80:81], v[146:147]
	v_fma_f64 v[80:81], v[26:27], s[26:27], -v[84:85]
	v_mul_f64 v[34:35], v[34:35], s[22:23]
	v_mul_f64 v[32:33], v[32:33], s[22:23]
	v_accvgpr_read_b32 v0, a22
	v_accvgpr_read_b32 v2, a26
	v_add_f64 v[148:149], v[80:81], v[148:149]
	v_fma_f64 v[80:81], v[24:25], s[18:19], -v[34:35]
	v_fmac_f64_e32 v[34:35], s[18:19], v[24:25]
	v_fma_f64 v[24:25], v[26:27], s[18:19], -v[32:33]
	v_accvgpr_read_b32 v1, a23
	v_accvgpr_read_b32 v3, a27
	v_add_f64 v[212:213], v[66:67], -v[28:29]
	v_add_f64 v[116:117], v[208:209], v[116:117]
	v_fma_f64 v[208:209], s[26:27], v[26:27], v[84:85]
	v_add_f64 v[192:193], v[24:25], v[192:193]
	v_add_f64 v[210:211], v[0:1], v[2:3]
	v_mul_f64 v[24:25], v[212:213], s[22:23]
	v_add_f64 v[144:145], v[208:209], v[144:145]
	v_add_f64 v[150:151], v[80:81], v[150:151]
	v_fma_f64 v[80:81], s[18:19], v[26:27], v[32:33]
	v_add_f64 v[208:209], v[0:1], -v[2:3]
	v_fma_f64 v[26:27], v[210:211], s[18:19], -v[24:25]
	v_add_f64 v[216:217], v[66:67], v[28:29]
	v_add_f64 v[194:195], v[26:27], v[194:195]
	v_mul_f64 v[26:27], v[208:209], s[22:23]
	v_fmac_f64_e32 v[24:25], s[18:19], v[210:211]
	v_add_f64 v[38:39], v[24:25], v[38:39]
	v_fma_f64 v[24:25], v[216:217], s[18:19], -v[26:27]
	v_add_f64 v[40:41], v[24:25], v[40:41]
	v_mul_f64 v[24:25], v[212:213], s[52:53]
	v_fma_f64 v[32:33], s[18:19], v[216:217], v[26:27]
	v_fma_f64 v[26:27], v[210:211], s[12:13], -v[24:25]
	v_add_f64 v[232:233], v[26:27], v[46:47]
	v_mul_f64 v[26:27], v[208:209], s[52:53]
	v_fmac_f64_e32 v[24:25], s[12:13], v[210:211]
	v_add_f64 v[36:37], v[32:33], v[36:37]
	v_fma_f64 v[32:33], s[12:13], v[216:217], v[26:27]
	v_add_f64 v[52:53], v[24:25], v[52:53]
	v_fma_f64 v[24:25], v[216:217], s[12:13], -v[26:27]
	v_mul_f64 v[26:27], v[212:213], s[40:41]
	v_add_f64 v[234:235], v[32:33], v[48:49]
	v_add_f64 v[54:55], v[24:25], v[54:55]
	v_fma_f64 v[24:25], v[210:211], s[26:27], -v[26:27]
	v_mul_f64 v[32:33], v[208:209], s[40:41]
	v_fmac_f64_e32 v[26:27], s[26:27], v[210:211]
	v_add_f64 v[68:69], v[26:27], v[68:69]
	v_fma_f64 v[26:27], v[216:217], s[26:27], -v[32:33]
	v_add_f64 v[76:77], v[26:27], v[76:77]
	v_mul_f64 v[26:27], v[212:213], s[30:31]
	v_add_f64 v[56:57], v[24:25], v[56:57]
	v_fma_f64 v[24:25], s[26:27], v[216:217], v[32:33]
	v_fma_f64 v[32:33], v[210:211], s[28:29], -v[26:27]
	v_add_f64 v[78:79], v[32:33], v[78:79]
	v_mul_f64 v[32:33], v[208:209], s[30:31]
	v_fmac_f64_e32 v[26:27], s[28:29], v[210:211]
	v_add_f64 v[94:95], v[26:27], v[94:95]
	v_fma_f64 v[26:27], v[216:217], s[28:29], -v[32:33]
	v_add_f64 v[96:97], v[26:27], v[96:97]
	v_mul_f64 v[26:27], v[212:213], s[34:35]
	v_add_f64 v[174:175], v[34:35], v[174:175]
	v_fma_f64 v[34:35], s[28:29], v[216:217], v[32:33]
	v_fma_f64 v[32:33], v[210:211], s[0:1], -v[26:27]
	v_add_f64 v[98:99], v[32:33], v[98:99]
	;; [unrolled: 10-line block ×3, first 2 shown]
	v_mul_f64 v[32:33], v[208:209], s[48:49]
	v_fmac_f64_e32 v[26:27], s[20:21], v[210:211]
	v_mul_f64 v[46:47], v[212:213], s[42:43]
	v_add_f64 v[100:101], v[34:35], v[100:101]
	v_fma_f64 v[34:35], s[20:21], v[216:217], v[32:33]
	v_add_f64 v[118:119], v[26:27], v[118:119]
	v_fma_f64 v[26:27], v[216:217], s[20:21], -v[32:33]
	v_fma_f64 v[32:33], v[210:211], s[36:37], -v[46:47]
	v_mul_f64 v[48:49], v[208:209], s[42:43]
	v_fmac_f64_e32 v[46:47], s[36:37], v[210:211]
	v_add_f64 v[172:173], v[80:81], v[172:173]
	v_add_f64 v[80:81], v[46:47], v[146:147]
	v_fma_f64 v[46:47], v[216:217], s[36:37], -v[48:49]
	v_add_f64 v[84:85], v[46:47], v[148:149]
	v_mul_f64 v[46:47], v[212:213], s[24:25]
	v_add_f64 v[116:117], v[34:35], v[116:117]
	v_fma_f64 v[34:35], s[36:37], v[216:217], v[48:49]
	v_fma_f64 v[48:49], v[210:211], s[16:17], -v[46:47]
	v_accvgpr_read_b32 v4, a12
	v_accvgpr_read_b32 v6, a14
	v_add_f64 v[212:213], v[48:49], v[150:151]
	v_mul_f64 v[48:49], v[208:209], s[24:25]
	v_fmac_f64_e32 v[46:47], s[16:17], v[210:211]
	v_accvgpr_read_b32 v5, a13
	v_accvgpr_read_b32 v7, a15
	v_add_f64 v[210:211], v[46:47], v[174:175]
	v_fma_f64 v[46:47], v[216:217], s[16:17], -v[48:49]
	v_add_f64 v[0:1], v[4:5], v[6:7]
	v_add_f64 v[4:5], v[4:5], -v[6:7]
	v_add_f64 v[6:7], v[42:43], -v[74:75]
	v_add_f64 v[24:25], v[24:25], v[62:63]
	v_fma_f64 v[62:63], s[16:17], v[216:217], v[48:49]
	v_add_f64 v[216:217], v[46:47], v[192:193]
	v_mul_f64 v[46:47], v[6:7], s[30:31]
	v_fma_f64 v[48:49], v[0:1], s[28:29], -v[46:47]
	v_add_f64 v[2:3], v[42:43], v[74:75]
	v_add_f64 v[218:219], v[48:49], v[194:195]
	v_mul_f64 v[48:49], v[4:5], s[30:31]
	v_add_f64 v[208:209], v[62:63], v[172:173]
	v_fma_f64 v[62:63], s[28:29], v[2:3], v[48:49]
	v_add_f64 v[220:221], v[62:63], v[36:37]
	v_fma_f64 v[36:37], v[2:3], s[28:29], -v[48:49]
	v_fmac_f64_e32 v[46:47], s[28:29], v[0:1]
	v_add_f64 v[48:49], v[36:37], v[40:41]
	v_mul_f64 v[36:37], v[6:7], s[24:25]
	v_add_f64 v[26:27], v[26:27], v[136:137]
	v_add_f64 v[46:47], v[46:47], v[38:39]
	v_fma_f64 v[38:39], v[0:1], s[16:17], -v[36:37]
	v_mul_f64 v[136:137], v[4:5], s[24:25]
	v_fmac_f64_e32 v[36:37], s[16:17], v[0:1]
	v_add_f64 v[62:63], v[36:37], v[52:53]
	v_fma_f64 v[36:37], v[2:3], s[16:17], -v[136:137]
	v_mul_f64 v[52:53], v[6:7], s[46:47]
	v_fma_f64 v[40:41], s[16:17], v[2:3], v[136:137]
	v_add_f64 v[36:37], v[36:37], v[54:55]
	v_fma_f64 v[54:55], v[0:1], s[0:1], -v[52:53]
	v_mul_f64 v[136:137], v[4:5], s[46:47]
	v_add_f64 v[54:55], v[54:55], v[56:57]
	v_fma_f64 v[56:57], s[0:1], v[2:3], v[136:137]
	v_add_f64 v[56:57], v[56:57], v[24:25]
	v_fmac_f64_e32 v[52:53], s[0:1], v[0:1]
	v_fma_f64 v[24:25], v[2:3], s[0:1], -v[136:137]
	v_add_f64 v[68:69], v[52:53], v[68:69]
	v_add_f64 v[52:53], v[24:25], v[76:77]
	v_mul_f64 v[24:25], v[6:7], s[56:57]
	v_fma_f64 v[76:77], v[0:1], s[18:19], -v[24:25]
	v_add_f64 v[38:39], v[38:39], v[232:233]
	v_add_f64 v[232:233], v[76:77], v[78:79]
	v_mul_f64 v[76:77], v[4:5], s[56:57]
	v_fmac_f64_e32 v[24:25], s[18:19], v[0:1]
	v_add_f64 v[192:193], v[24:25], v[94:95]
	v_fma_f64 v[24:25], v[2:3], s[18:19], -v[76:77]
	v_add_f64 v[194:195], v[24:25], v[96:97]
	v_mul_f64 v[24:25], v[6:7], s[40:41]
	v_fma_f64 v[78:79], s[18:19], v[2:3], v[76:77]
	v_fma_f64 v[76:77], v[0:1], s[26:27], -v[24:25]
	v_add_f64 v[172:173], v[76:77], v[98:99]
	v_mul_f64 v[76:77], v[4:5], s[40:41]
	v_fmac_f64_e32 v[24:25], s[26:27], v[0:1]
	v_add_f64 v[148:149], v[24:25], v[102:103]
	v_fma_f64 v[24:25], v[2:3], s[26:27], -v[76:77]
	v_add_f64 v[150:151], v[24:25], v[112:113]
	v_mul_f64 v[24:25], v[6:7], s[42:43]
	v_add_f64 v[40:41], v[40:41], v[234:235]
	v_add_f64 v[234:235], v[78:79], v[92:93]
	v_fma_f64 v[78:79], s[26:27], v[2:3], v[76:77]
	v_fma_f64 v[76:77], v[0:1], s[36:37], -v[24:25]
	v_add_f64 v[34:35], v[34:35], v[144:145]
	v_add_f64 v[144:145], v[76:77], v[114:115]
	v_mul_f64 v[76:77], v[4:5], s[42:43]
	v_fmac_f64_e32 v[24:25], s[36:37], v[0:1]
	v_add_f64 v[136:137], v[24:25], v[118:119]
	v_fma_f64 v[24:25], v[2:3], s[36:37], -v[76:77]
	v_add_f64 v[32:33], v[32:33], v[138:139]
	v_add_f64 v[138:139], v[24:25], v[26:27]
	v_mul_f64 v[24:25], v[6:7], s[38:39]
	v_fma_f64 v[26:27], v[0:1], s[20:21], -v[24:25]
	v_add_f64 v[112:113], v[26:27], v[32:33]
	v_mul_f64 v[26:27], v[4:5], s[38:39]
	v_fmac_f64_e32 v[24:25], s[20:21], v[0:1]
	v_add_f64 v[96:97], v[24:25], v[80:81]
	v_fma_f64 v[24:25], v[2:3], s[20:21], -v[26:27]
	v_accvgpr_read_b32 v81, a5
	v_add_f64 v[98:99], v[24:25], v[84:85]
	v_accvgpr_read_b32 v85, a7
	v_mul_f64 v[6:7], v[6:7], s[14:15]
	v_mul_f64 v[4:5], v[4:5], s[14:15]
	v_accvgpr_read_b32 v80, a4
	v_accvgpr_read_b32 v84, a6
	v_fma_f64 v[24:25], v[0:1], s[12:13], -v[6:7]
	v_fmac_f64_e32 v[6:7], s[12:13], v[0:1]
	v_fma_f64 v[0:1], v[2:3], s[12:13], -v[4:5]
	v_add_f64 v[118:119], v[44:45], -v[50:51]
	v_add_f64 v[174:175], v[78:79], v[100:101]
	v_fma_f64 v[78:79], s[36:37], v[2:3], v[76:77]
	v_add_f64 v[76:77], v[0:1], v[216:217]
	v_add_f64 v[102:103], v[80:81], v[84:85]
	v_mul_f64 v[0:1], v[118:119], s[42:43]
	v_add_f64 v[146:147], v[78:79], v[116:117]
	v_fma_f64 v[32:33], s[20:21], v[2:3], v[26:27]
	v_add_f64 v[92:93], v[24:25], v[212:213]
	v_fma_f64 v[24:25], s[12:13], v[2:3], v[4:5]
	v_add_f64 v[116:117], v[80:81], -v[84:85]
	v_fma_f64 v[2:3], v[102:103], s[36:37], -v[0:1]
	v_add_f64 v[100:101], v[44:45], v[50:51]
	v_add_f64 v[216:217], v[2:3], v[218:219]
	v_mul_f64 v[2:3], v[116:117], s[42:43]
	v_fmac_f64_e32 v[0:1], s[36:37], v[102:103]
	v_add_f64 v[114:115], v[32:33], v[34:35]
	v_add_f64 v[32:33], v[0:1], v[46:47]
	v_fma_f64 v[0:1], v[100:101], s[36:37], -v[2:3]
	v_add_f64 v[34:35], v[0:1], v[48:49]
	v_mul_f64 v[0:1], v[118:119], s[44:45]
	v_fma_f64 v[4:5], s[36:37], v[100:101], v[2:3]
	v_fma_f64 v[2:3], v[102:103], s[26:27], -v[0:1]
	v_add_f64 v[94:95], v[24:25], v[208:209]
	v_add_f64 v[24:25], v[2:3], v[38:39]
	v_mul_f64 v[2:3], v[116:117], s[44:45]
	v_fmac_f64_e32 v[0:1], s[26:27], v[102:103]
	v_add_f64 v[218:219], v[4:5], v[220:221]
	v_fma_f64 v[4:5], s[26:27], v[100:101], v[2:3]
	v_add_f64 v[38:39], v[0:1], v[62:63]
	v_fma_f64 v[0:1], v[100:101], s[26:27], -v[2:3]
	v_add_f64 v[26:27], v[4:5], v[40:41]
	v_add_f64 v[40:41], v[0:1], v[36:37]
	v_mul_f64 v[0:1], v[118:119], s[30:31]
	v_fma_f64 v[2:3], v[102:103], s[28:29], -v[0:1]
	v_add_f64 v[46:47], v[2:3], v[54:55]
	v_mul_f64 v[2:3], v[116:117], s[30:31]
	v_fma_f64 v[4:5], s[28:29], v[100:101], v[2:3]
	v_fmac_f64_e32 v[0:1], s[28:29], v[102:103]
	v_add_f64 v[48:49], v[4:5], v[56:57]
	v_add_f64 v[4:5], v[0:1], v[68:69]
	v_fma_f64 v[0:1], v[100:101], s[28:29], -v[2:3]
	v_add_f64 v[78:79], v[6:7], v[210:211]
	v_add_f64 v[6:7], v[0:1], v[52:53]
	v_mul_f64 v[0:1], v[118:119], s[38:39]
	v_accvgpr_write_b32 a67, v49
	v_fma_f64 v[2:3], v[102:103], s[20:21], -v[0:1]
	v_accvgpr_write_b32 a66, v48
	v_accvgpr_write_b32 a65, v47
	;; [unrolled: 1-line block ×4, first 2 shown]
	v_add_f64 v[46:47], v[2:3], v[232:233]
	v_mul_f64 v[2:3], v[116:117], s[38:39]
	v_accvgpr_write_b32 a70, v6
	v_accvgpr_write_b32 a69, v5
	;; [unrolled: 1-line block ×3, first 2 shown]
	v_fma_f64 v[4:5], s[20:21], v[100:101], v[2:3]
	v_fmac_f64_e32 v[0:1], s[20:21], v[102:103]
	v_add_f64 v[48:49], v[4:5], v[234:235]
	v_add_f64 v[4:5], v[0:1], v[192:193]
	v_fma_f64 v[0:1], v[100:101], s[20:21], -v[2:3]
	v_add_f64 v[6:7], v[0:1], v[194:195]
	v_mul_f64 v[0:1], v[118:119], s[22:23]
	v_accvgpr_write_b32 a87, v49
	v_fma_f64 v[2:3], v[102:103], s[18:19], -v[0:1]
	v_accvgpr_write_b32 a86, v48
	v_accvgpr_write_b32 a85, v47
	;; [unrolled: 1-line block ×4, first 2 shown]
	v_add_f64 v[46:47], v[2:3], v[172:173]
	v_mul_f64 v[2:3], v[116:117], s[22:23]
	v_accvgpr_write_b32 a82, v6
	v_accvgpr_write_b32 a81, v5
	;; [unrolled: 1-line block ×3, first 2 shown]
	v_fma_f64 v[4:5], s[18:19], v[100:101], v[2:3]
	v_fmac_f64_e32 v[0:1], s[18:19], v[102:103]
	v_add_f64 v[48:49], v[4:5], v[174:175]
	v_add_f64 v[4:5], v[0:1], v[148:149]
	v_fma_f64 v[0:1], v[100:101], s[18:19], -v[2:3]
	v_accvgpr_mov_b32 a57, a37
	v_accvgpr_mov_b32 a45, a35
	v_add_f64 v[6:7], v[0:1], v[150:151]
	v_mul_f64 v[0:1], v[118:119], s[24:25]
	v_accvgpr_mov_b32 a56, a36
	v_accvgpr_mov_b32 a44, a34
	;; [unrolled: 1-line block ×4, first 2 shown]
	v_accvgpr_write_b32 a99, v49
	v_fma_f64 v[2:3], v[102:103], s[16:17], -v[0:1]
	v_accvgpr_mov_b32 a36, a28
	v_accvgpr_mov_b32 a34, a26
	v_accvgpr_write_b32 a98, v48
	v_accvgpr_write_b32 a97, v47
	;; [unrolled: 1-line block ×4, first 2 shown]
	v_add_f64 v[46:47], v[2:3], v[144:145]
	v_mul_f64 v[2:3], v[116:117], s[24:25]
	v_accvgpr_write_b32 a28, v6
	v_accvgpr_write_b32 a27, v5
	;; [unrolled: 1-line block ×3, first 2 shown]
	v_fma_f64 v[4:5], s[16:17], v[100:101], v[2:3]
	v_fmac_f64_e32 v[0:1], s[16:17], v[102:103]
	v_accvgpr_mov_b32 a43, a33
	v_accvgpr_mov_b32 a39, a31
	v_add_f64 v[48:49], v[4:5], v[146:147]
	v_add_f64 v[4:5], v[0:1], v[136:137]
	v_fma_f64 v[0:1], v[100:101], s[16:17], -v[2:3]
	v_accvgpr_mov_b32 a42, a32
	v_accvgpr_mov_b32 a38, a30
	v_accvgpr_mov_b32 a31, a13
	v_accvgpr_mov_b32 a33, a15
	v_add_f64 v[6:7], v[0:1], v[138:139]
	v_mul_f64 v[0:1], v[118:119], s[14:15]
	v_accvgpr_mov_b32 a30, a12
	v_accvgpr_mov_b32 a32, a14
	v_accvgpr_write_b32 a12, v46
	v_fma_f64 v[2:3], v[102:103], s[12:13], -v[0:1]
	v_accvgpr_write_b32 a13, v47
	v_accvgpr_write_b32 a14, v48
	;; [unrolled: 1-line block ×4, first 2 shown]
	v_add_f64 v[46:47], v[2:3], v[112:113]
	v_mul_f64 v[2:3], v[116:117], s[14:15]
	v_accvgpr_write_b32 a5, v5
	v_accvgpr_write_b32 a6, v6
	;; [unrolled: 1-line block ×3, first 2 shown]
	v_fma_f64 v[4:5], s[12:13], v[100:101], v[2:3]
	v_fmac_f64_e32 v[0:1], s[12:13], v[102:103]
	v_add_f64 v[48:49], v[4:5], v[114:115]
	v_add_f64 v[4:5], v[0:1], v[96:97]
	v_fma_f64 v[0:1], v[100:101], s[12:13], -v[2:3]
	v_add_f64 v[6:7], v[0:1], v[98:99]
	v_mul_f64 v[0:1], v[118:119], s[34:35]
	v_accvgpr_write_b32 a127, v49
	v_fma_f64 v[2:3], v[102:103], s[0:1], -v[0:1]
	v_accvgpr_write_b32 a126, v48
	v_accvgpr_write_b32 a125, v47
	v_accvgpr_write_b32 a124, v46
	v_accvgpr_write_b32 a139, v7
	v_add_f64 v[46:47], v[2:3], v[92:93]
	v_mul_f64 v[2:3], v[116:117], s[34:35]
	v_accvgpr_write_b32 a138, v6
	v_accvgpr_write_b32 a137, v5
	;; [unrolled: 1-line block ×3, first 2 shown]
	v_fma_f64 v[4:5], s[0:1], v[100:101], v[2:3]
	v_fmac_f64_e32 v[0:1], s[0:1], v[102:103]
	v_add_f64 v[48:49], v[4:5], v[94:95]
	v_add_f64 v[4:5], v[0:1], v[78:79]
	v_fma_f64 v[0:1], v[100:101], s[0:1], -v[2:3]
	v_add_f64 v[6:7], v[0:1], v[76:77]
	v_accvgpr_read_b32 v0, a0
	v_mul_u32_u24_e32 v0, 0x77, v0
	v_accvgpr_read_b32 v1, a1
	v_mov_b32_e32 v208, v223
	v_add_u32_sdwa v0, v0, v1 dst_sel:DWORD dst_unused:UNUSED_PAD src0_sel:DWORD src1_sel:BYTE_0
	v_lshl_add_u32 v220, v0, 4, v208
	v_accvgpr_read_b32 v0, a2
	v_mul_u32_u24_e32 v0, 0x77, v0
	v_add_u32_sdwa v0, v0, v215 dst_sel:DWORD dst_unused:UNUSED_PAD src0_sel:DWORD src1_sel:BYTE_0
	s_waitcnt lgkmcnt(0)
	; wave barrier
	ds_write_b128 v220, a[72:75]
	ds_write_b128 v220, a[76:79] offset:112
	ds_write_b128 v220, a[104:107] offset:224
	;; [unrolled: 1-line block ×10, first 2 shown]
	v_lshl_add_u32 v190, v0, 4, v208
	v_accvgpr_write_b32 a213, v49
	v_accvgpr_write_b32 a245, v7
	v_mov_b64_e32 v[202:203], v[34:35]
	v_mov_b64_e32 v[188:189], v[26:27]
	ds_write_b128 v220, v[180:183] offset:1232
	ds_write_b128 v220, v[168:171] offset:1344
	;; [unrolled: 1-line block ×6, first 2 shown]
	ds_write_b128 v190, v[204:207]
	v_mov_b64_e32 v[206:207], v[40:41]
	v_accvgpr_write_b32 a212, v48
	v_accvgpr_write_b32 a211, v47
	;; [unrolled: 1-line block ×6, first 2 shown]
	v_mov_b64_e32 v[200:201], v[32:33]
	v_mov_b64_e32 v[186:187], v[24:25]
	;; [unrolled: 1-line block ×3, first 2 shown]
	ds_write_b128 v190, v[132:135] offset:112
	ds_write_b128 v190, v[124:127] offset:224
	;; [unrolled: 1-line block ×16, first 2 shown]
	s_and_saveexec_b64 s[0:1], vcc
	s_cbranch_execz .LBB0_5
; %bb.4:
	v_add_f64 v[0:1], v[106:107], v[70:71]
	v_add_f64 v[0:1], v[0:1], v[72:73]
	;; [unrolled: 1-line block ×16, first 2 shown]
	v_accvgpr_read_b32 v0, a8
	v_accvgpr_read_b32 v1, a9
	v_accvgpr_read_b32 v4, a10
	v_add_f64 v[0:1], v[104:105], v[0:1]
	v_accvgpr_read_b32 v5, a11
	v_add_f64 v[0:1], v[0:1], v[4:5]
	v_accvgpr_read_b32 v4, a16
	v_accvgpr_read_b32 v5, a17
	v_add_f64 v[0:1], v[0:1], v[4:5]
	v_accvgpr_read_b32 v4, a18
	;; [unrolled: 3-line block ×5, first 2 shown]
	v_accvgpr_read_b32 v5, a31
	v_add_f64 v[0:1], v[0:1], v[4:5]
	v_add_f64 v[0:1], v[0:1], v[80:81]
	v_accvgpr_read_b32 v4, a32
	v_add_f64 v[0:1], v[0:1], v[84:85]
	v_accvgpr_read_b32 v5, a33
	v_add_f64 v[0:1], v[0:1], v[4:5]
	v_accvgpr_read_b32 v4, a34
	v_accvgpr_read_b32 v5, a35
	v_add_f64 v[0:1], v[0:1], v[4:5]
	v_accvgpr_read_b32 v4, a36
	v_accvgpr_read_b32 v5, a37
	v_add_f64 v[0:1], v[0:1], v[4:5]
	v_accvgpr_read_b32 v4, a38
	;; [unrolled: 3-line block ×5, first 2 shown]
	v_accvgpr_read_b32 v5, a57
	v_add_f64 v[0:1], v[0:1], v[4:5]
	scratch_load_dword v4, off, off offset:84 ; 4-byte Folded Reload
	s_waitcnt vmcnt(0)
	v_and_b32_e32 v4, 0xff, v4
	v_lshl_add_u32 v4, v4, 4, v208
	ds_write_b128 v4, v[0:3] offset:7616
	ds_write_b128 v4, v[216:219] offset:7728
	;; [unrolled: 1-line block ×17, first 2 shown]
.LBB0_5:
	s_or_b64 exec, exec, s[0:1]
	v_accvgpr_read_b32 v226, a24
	v_lshlrev_b32_e32 v166, 6, v226
	s_waitcnt lgkmcnt(0)
	; wave barrier
	s_waitcnt lgkmcnt(0)
	ds_read_b128 v[20:23], v222
	ds_read_b128 v[148:151], v222 offset:1904
	ds_read_b128 v[132:135], v222 offset:3808
	;; [unrolled: 1-line block ×34, first 2 shown]
	global_load_dwordx4 v[108:111], v166, s[10:11] offset:1840
	global_load_dwordx4 v[120:123], v166, s[10:11] offset:1824
	;; [unrolled: 1-line block ×4, first 2 shown]
	s_mov_b32 s0, 0x4755a5e
	s_mov_b32 s15, 0xbfee6f0e
	;; [unrolled: 1-line block ×7, first 2 shown]
	s_add_u32 s8, s8, 0x2530
	s_addc_u32 s9, s9, 0
	s_mov_b32 s22, 0x37e14327
	s_mov_b32 s24, 0xe976ee23
	;; [unrolled: 1-line block ×7, first 2 shown]
	s_waitcnt vmcnt(3) lgkmcnt(14)
	v_mul_f64 v[106:107], v[126:127], v[110:111]
	v_fma_f64 v[194:195], v[124:125], v[108:109], -v[106:107]
	v_mul_f64 v[106:107], v[124:125], v[110:111]
	s_waitcnt vmcnt(0)
	v_mul_f64 v[104:105], v[150:151], v[142:143]
	v_fma_f64 v[174:175], v[148:149], v[140:141], -v[104:105]
	v_mul_f64 v[232:233], v[148:149], v[142:143]
	v_accvgpr_write_b32 a100, v140
	v_mul_f64 v[104:105], v[134:135], v[154:155]
	v_accvgpr_write_b32 a101, v141
	v_accvgpr_write_b32 a102, v142
	;; [unrolled: 1-line block ×3, first 2 shown]
	v_fmac_f64_e32 v[232:233], v[150:151], v[140:141]
	v_fma_f64 v[140:141], v[132:133], v[152:153], -v[104:105]
	v_mul_f64 v[104:105], v[130:131], v[122:123]
	v_accvgpr_write_b32 a76, v108
	v_fma_f64 v[142:143], v[128:129], v[120:121], -v[104:105]
	v_mul_f64 v[104:105], v[128:129], v[122:123]
	v_accvgpr_write_b32 a34, v120
	v_accvgpr_write_b32 a77, v109
	;; [unrolled: 1-line block ×4, first 2 shown]
	v_fmac_f64_e32 v[106:107], v[126:127], v[108:109]
	v_lshlrev_b32_e32 v108, 6, v214
	v_mul_f64 v[234:235], v[132:133], v[154:155]
	v_accvgpr_write_b32 a35, v121
	v_accvgpr_write_b32 a36, v122
	;; [unrolled: 1-line block ×3, first 2 shown]
	v_fmac_f64_e32 v[104:105], v[130:131], v[120:121]
	global_load_dwordx4 v[122:125], v108, s[10:11] offset:1840
	global_load_dwordx4 v[126:129], v108, s[10:11] offset:1824
	;; [unrolled: 1-line block ×4, first 2 shown]
	v_fmac_f64_e32 v[234:235], v[134:135], v[152:153]
	v_accvgpr_write_b32 a0, v152
	v_accvgpr_write_b32 a1, v153
	;; [unrolled: 1-line block ×4, first 2 shown]
	s_waitcnt vmcnt(3)
	v_accvgpr_write_b32 a8, v122
	s_waitcnt vmcnt(2)
	v_mul_f64 v[120:121], v[118:119], v[128:129]
	s_waitcnt vmcnt(1)
	v_mul_f64 v[110:111], v[138:139], v[132:133]
	v_fma_f64 v[110:111], v[136:137], v[130:131], -v[110:111]
	v_mul_f64 v[136:137], v[136:137], v[132:133]
	v_fmac_f64_e32 v[136:137], v[138:139], v[130:131]
	v_fma_f64 v[138:139], v[116:117], v[126:127], -v[120:121]
	v_mul_f64 v[116:117], v[116:117], v[128:129]
	v_fmac_f64_e32 v[116:117], v[118:119], v[126:127]
	v_mul_f64 v[118:119], v[114:115], v[124:125]
	v_fma_f64 v[118:119], v[112:113], v[122:123], -v[118:119]
	v_mul_f64 v[112:113], v[112:113], v[124:125]
	v_fmac_f64_e32 v[112:113], v[114:115], v[122:123]
	v_accvgpr_read_b32 v114, a40
	v_accvgpr_write_b32 a42, v130
	v_accvgpr_write_b32 a108, v126
	v_lshlrev_b32_e32 v114, 6, v114
	v_accvgpr_write_b32 a43, v131
	v_accvgpr_write_b32 a44, v132
	;; [unrolled: 1-line block ×9, first 2 shown]
	global_load_dwordx4 v[120:123], v114, s[10:11] offset:1840
	global_load_dwordx4 v[124:127], v114, s[10:11] offset:1824
	;; [unrolled: 1-line block ×4, first 2 shown]
	s_waitcnt vmcnt(4)
	v_mul_f64 v[108:109], v[146:147], v[150:151]
	v_fma_f64 v[108:109], v[144:145], v[148:149], -v[108:109]
	v_mul_f64 v[144:145], v[144:145], v[150:151]
	v_accvgpr_write_b32 a20, v148
	v_accvgpr_write_b32 a21, v149
	;; [unrolled: 1-line block ×4, first 2 shown]
	v_fmac_f64_e32 v[144:145], v[146:147], v[148:149]
	s_waitcnt vmcnt(3)
	v_accvgpr_write_b32 a56, v120
	s_waitcnt vmcnt(2)
	v_accvgpr_write_b32 a104, v124
	s_waitcnt vmcnt(1)
	v_accvgpr_write_b32 a72, v128
	s_waitcnt vmcnt(0)
	v_mul_f64 v[114:115], v[102:103], v[134:135]
	v_fma_f64 v[114:115], v[100:101], v[132:133], -v[114:115]
	v_mul_f64 v[100:101], v[100:101], v[134:135]
	v_fmac_f64_e32 v[100:101], v[102:103], v[132:133]
	v_mul_f64 v[102:103], v[98:99], v[130:131]
	v_fma_f64 v[102:103], v[96:97], v[128:129], -v[102:103]
	v_mul_f64 v[96:97], v[96:97], v[130:131]
	v_fmac_f64_e32 v[96:97], v[98:99], v[128:129]
	;; [unrolled: 4-line block ×4, first 2 shown]
	v_accvgpr_read_b32 v90, a254
	v_accvgpr_write_b32 a16, v132
	v_lshlrev_b32_e32 v90, 6, v90
	v_accvgpr_write_b32 a17, v133
	v_accvgpr_write_b32 a18, v134
	;; [unrolled: 1-line block ×12, first 2 shown]
	global_load_dwordx4 v[120:123], v90, s[10:11] offset:1840
	global_load_dwordx4 v[124:127], v90, s[10:11] offset:1824
	;; [unrolled: 1-line block ×4, first 2 shown]
	s_waitcnt vmcnt(3)
	v_accvgpr_write_b32 a131, v123
	s_waitcnt vmcnt(2)
	v_accvgpr_write_b32 a112, v124
	;; [unrolled: 2-line block ×3, first 2 shown]
	s_waitcnt vmcnt(0)
	v_mul_f64 v[90:91], v[86:87], v[134:135]
	v_fma_f64 v[90:91], v[84:85], v[132:133], -v[90:91]
	v_mul_f64 v[84:85], v[84:85], v[134:135]
	v_fmac_f64_e32 v[84:85], v[86:87], v[132:133]
	v_mul_f64 v[86:87], v[82:83], v[130:131]
	v_fma_f64 v[86:87], v[80:81], v[128:129], -v[86:87]
	v_mul_f64 v[80:81], v[80:81], v[130:131]
	v_fmac_f64_e32 v[80:81], v[82:83], v[128:129]
	;; [unrolled: 4-line block ×4, first 2 shown]
	v_accvgpr_read_b32 v74, a208
	v_accvgpr_write_b32 a116, v132
	v_lshlrev_b32_e32 v74, 6, v74
	v_accvgpr_write_b32 a117, v133
	v_accvgpr_write_b32 a118, v134
	;; [unrolled: 1-line block ×12, first 2 shown]
	global_load_dwordx4 v[130:133], v74, s[10:11] offset:1840
	global_load_dwordx4 v[148:151], v74, s[10:11] offset:1824
	;; [unrolled: 1-line block ×4, first 2 shown]
	s_waitcnt vmcnt(3)
	v_accvgpr_write_b32 a120, v130
	v_accvgpr_write_b32 a121, v131
	s_waitcnt vmcnt(1) lgkmcnt(12)
	v_mul_f64 v[120:121], v[64:65], v[124:125]
	s_waitcnt vmcnt(0)
	v_mul_f64 v[74:75], v[70:71], v[154:155]
	v_fma_f64 v[126:127], v[68:69], v[152:153], -v[74:75]
	v_mul_f64 v[146:147], v[68:69], v[154:155]
	v_accvgpr_write_b32 a30, v152
	v_mul_f64 v[68:69], v[66:67], v[124:125]
	v_accvgpr_write_b32 a31, v153
	v_accvgpr_write_b32 a32, v154
	;; [unrolled: 1-line block ×3, first 2 shown]
	v_fmac_f64_e32 v[146:147], v[70:71], v[152:153]
	v_fma_f64 v[152:153], v[64:65], v[122:123], -v[68:69]
	v_accvgpr_write_b32 a38, v122
	s_waitcnt lgkmcnt(11)
	v_mul_f64 v[64:65], v[62:63], v[150:151]
	v_accvgpr_write_b32 a39, v123
	v_accvgpr_write_b32 a40, v124
	;; [unrolled: 1-line block ×3, first 2 shown]
	v_fmac_f64_e32 v[120:121], v[66:67], v[122:123]
	v_fma_f64 v[154:155], v[60:61], v[148:149], -v[64:65]
	v_mul_f64 v[122:123], v[60:61], v[150:151]
	s_waitcnt lgkmcnt(10)
	v_mul_f64 v[60:61], v[58:59], v[132:133]
	v_fma_f64 v[128:129], v[56:57], v[130:131], -v[60:61]
	v_mul_f64 v[124:125], v[56:57], v[132:133]
	v_add_u32_e32 v56, 0x1540, v166
	v_fmac_f64_e32 v[122:123], v[62:63], v[148:149]
	v_fmac_f64_e32 v[124:125], v[58:59], v[130:131]
	global_load_dwordx4 v[58:61], v56, s[10:11] offset:1840
	global_load_dwordx4 v[62:65], v56, s[10:11] offset:1824
	;; [unrolled: 1-line block ×4, first 2 shown]
	v_accvgpr_write_b32 a122, v132
	v_accvgpr_write_b32 a123, v133
	;; [unrolled: 1-line block ×6, first 2 shown]
	v_add_f64 v[70:71], v[82:83], -v[78:79]
	v_add_f64 v[74:75], v[90:91], -v[78:79]
	s_waitcnt vmcnt(3) lgkmcnt(5)
	v_mul_f64 v[156:157], v[40:41], v[60:61]
	s_waitcnt vmcnt(2)
	v_mul_f64 v[134:135], v[44:45], v[64:65]
	s_waitcnt vmcnt(1)
	;; [unrolled: 2-line block ×3, first 2 shown]
	v_mul_f64 v[56:57], v[54:55], v[230:231]
	v_fma_f64 v[158:159], v[52:53], v[228:229], -v[56:57]
	v_mul_f64 v[130:131], v[52:53], v[230:231]
	v_mul_f64 v[52:53], v[50:51], v[68:69]
	v_fma_f64 v[160:161], v[48:49], v[66:67], -v[52:53]
	v_mul_f64 v[48:49], v[46:47], v[64:65]
	v_fma_f64 v[162:163], v[44:45], v[62:63], -v[48:49]
	;; [unrolled: 2-line block ×3, first 2 shown]
	v_add_u32_e32 v40, 0x1980, v166
	global_load_dwordx4 v[236:239], v40, s[10:11] offset:1840
	global_load_dwordx4 v[240:243], v40, s[10:11] offset:1824
	;; [unrolled: 1-line block ×4, first 2 shown]
	s_mov_b32 s10, 0x134454ff
	s_mov_b32 s11, 0x3fee6f0e
	;; [unrolled: 1-line block ×3, first 2 shown]
	v_fmac_f64_e32 v[156:157], v[42:43], v[58:59]
	v_add_f64 v[42:43], v[110:111], -v[138:139]
	v_add_f64 v[44:45], v[112:113], -v[116:117]
	v_fmac_f64_e32 v[134:135], v[46:47], v[62:63]
	v_add_f64 v[46:47], v[116:117], -v[112:113]
	v_fmac_f64_e32 v[132:133], v[50:51], v[66:67]
	v_add_f64 v[50:51], v[114:115], -v[102:103]
	v_add_f64 v[52:53], v[94:95], -v[98:99]
	v_add_f64 v[50:51], v[50:51], v[52:53]
	v_fmac_f64_e32 v[130:131], v[54:55], v[228:229]
	v_add_f64 v[54:55], v[98:99], -v[94:95]
	v_accvgpr_write_b32 a217, v61
	v_add_f64 v[56:57], v[114:115], -v[94:95]
	v_accvgpr_write_b32 a216, v60
	v_accvgpr_write_b32 a215, v59
	;; [unrolled: 1-line block ×3, first 2 shown]
	v_add_f64 v[58:59], v[102:103], -v[98:99]
	v_add_f64 v[60:61], v[88:89], -v[92:93]
	v_accvgpr_write_b32 a225, v65
	v_accvgpr_write_b32 a224, v64
	v_accvgpr_write_b32 a223, v63
	v_accvgpr_write_b32 a222, v62
	v_add_f64 v[62:63], v[92:93], -v[88:89]
	v_accvgpr_write_b32 a241, v69
	v_accvgpr_write_b32 a240, v68
	v_accvgpr_write_b32 a239, v67
	v_accvgpr_write_b32 a238, v66
	v_add_f64 v[66:67], v[90:91], -v[86:87]
	v_add_f64 v[68:69], v[78:79], -v[82:83]
	v_add_f64 v[66:67], v[66:67], v[68:69]
	s_waitcnt vmcnt(3) lgkmcnt(0)
	v_mul_f64 v[178:179], v[24:25], v[238:239]
	s_waitcnt vmcnt(2)
	v_mul_f64 v[170:171], v[28:29], v[242:243]
	s_waitcnt vmcnt(1)
	;; [unrolled: 2-line block ×3, first 2 shown]
	v_mul_f64 v[40:41], v[38:39], v[250:251]
	v_fma_f64 v[176:177], v[36:37], v[248:249], -v[40:41]
	v_mul_f64 v[166:167], v[36:37], v[250:251]
	v_mul_f64 v[36:37], v[34:35], v[246:247]
	v_fma_f64 v[180:181], v[32:33], v[244:245], -v[36:37]
	v_mul_f64 v[32:33], v[30:31], v[242:243]
	v_fma_f64 v[182:183], v[28:29], v[240:241], -v[32:33]
	;; [unrolled: 2-line block ×3, first 2 shown]
	v_add_f64 v[24:25], v[20:21], v[174:175]
	v_add_f64 v[24:25], v[24:25], v[140:141]
	;; [unrolled: 1-line block ×5, first 2 shown]
	v_fma_f64 v[148:149], -0.5, v[24:25], v[20:21]
	v_add_f64 v[24:25], v[232:233], -v[106:107]
	v_fmac_f64_e32 v[170:171], v[30:31], v[240:241]
	v_fmac_f64_e32 v[178:179], v[26:27], v[236:237]
	v_fma_f64 v[192:193], s[10:11], v[24:25], v[148:149]
	v_add_f64 v[26:27], v[234:235], -v[104:105]
	v_add_f64 v[28:29], v[174:175], -v[140:141]
	;; [unrolled: 1-line block ×3, first 2 shown]
	v_fmac_f64_e32 v[148:149], s[14:15], v[24:25]
	v_fmac_f64_e32 v[192:193], s[0:1], v[26:27]
	v_add_f64 v[28:29], v[28:29], v[30:31]
	v_fmac_f64_e32 v[148:149], s[16:17], v[26:27]
	v_fmac_f64_e32 v[192:193], s[12:13], v[28:29]
	;; [unrolled: 1-line block ×3, first 2 shown]
	v_add_f64 v[28:29], v[174:175], v[194:195]
	v_fmac_f64_e32 v[20:21], -0.5, v[28:29]
	v_fma_f64 v[172:173], s[14:15], v[26:27], v[20:21]
	v_fmac_f64_e32 v[20:21], s[10:11], v[26:27]
	v_fmac_f64_e32 v[172:173], s[0:1], v[24:25]
	;; [unrolled: 1-line block ×3, first 2 shown]
	v_add_f64 v[24:25], v[22:23], v[232:233]
	v_add_f64 v[24:25], v[24:25], v[234:235]
	;; [unrolled: 1-line block ×3, first 2 shown]
	v_add_f64 v[28:29], v[140:141], -v[174:175]
	v_add_f64 v[30:31], v[142:143], -v[194:195]
	v_add_f64 v[214:215], v[24:25], v[106:107]
	v_add_f64 v[24:25], v[234:235], v[104:105]
	;; [unrolled: 1-line block ×3, first 2 shown]
	v_fma_f64 v[150:151], -0.5, v[24:25], v[22:23]
	v_add_f64 v[24:25], v[174:175], -v[194:195]
	v_fmac_f64_e32 v[172:173], s[12:13], v[28:29]
	v_fmac_f64_e32 v[20:21], s[12:13], v[28:29]
	v_fma_f64 v[194:195], s[14:15], v[24:25], v[150:151]
	v_add_f64 v[26:27], v[140:141], -v[142:143]
	v_add_f64 v[28:29], v[232:233], -v[234:235]
	;; [unrolled: 1-line block ×3, first 2 shown]
	v_fmac_f64_e32 v[150:151], s[10:11], v[24:25]
	v_fmac_f64_e32 v[194:195], s[16:17], v[26:27]
	v_add_f64 v[28:29], v[28:29], v[30:31]
	v_fmac_f64_e32 v[150:151], s[0:1], v[26:27]
	v_fmac_f64_e32 v[194:195], s[12:13], v[28:29]
	;; [unrolled: 1-line block ×3, first 2 shown]
	v_add_f64 v[28:29], v[232:233], v[106:107]
	v_fmac_f64_e32 v[22:23], -0.5, v[28:29]
	v_fma_f64 v[174:175], s[10:11], v[26:27], v[22:23]
	v_fmac_f64_e32 v[22:23], s[14:15], v[26:27]
	v_fmac_f64_e32 v[174:175], s[16:17], v[24:25]
	v_fmac_f64_e32 v[22:23], s[0:1], v[24:25]
	v_add_f64 v[24:25], v[16:17], v[108:109]
	v_add_f64 v[24:25], v[24:25], v[110:111]
	;; [unrolled: 1-line block ×3, first 2 shown]
	v_add_f64 v[28:29], v[234:235], -v[232:233]
	v_add_f64 v[30:31], v[104:105], -v[106:107]
	v_add_f64 v[32:33], v[24:25], v[118:119]
	v_add_f64 v[24:25], v[110:111], v[138:139]
	;; [unrolled: 1-line block ×3, first 2 shown]
	v_fma_f64 v[24:25], -0.5, v[24:25], v[16:17]
	v_add_f64 v[26:27], v[144:145], -v[112:113]
	v_fmac_f64_e32 v[168:169], v[34:35], v[244:245]
	v_fmac_f64_e32 v[174:175], s[12:13], v[28:29]
	v_fmac_f64_e32 v[22:23], s[12:13], v[28:29]
	v_fma_f64 v[28:29], s[10:11], v[26:27], v[24:25]
	v_add_f64 v[30:31], v[136:137], -v[116:117]
	v_add_f64 v[34:35], v[108:109], -v[110:111]
	;; [unrolled: 1-line block ×3, first 2 shown]
	v_fmac_f64_e32 v[24:25], s[14:15], v[26:27]
	v_fmac_f64_e32 v[28:29], s[0:1], v[30:31]
	v_add_f64 v[34:35], v[34:35], v[36:37]
	v_fmac_f64_e32 v[24:25], s[16:17], v[30:31]
	v_fmac_f64_e32 v[28:29], s[12:13], v[34:35]
	v_fmac_f64_e32 v[24:25], s[12:13], v[34:35]
	v_add_f64 v[34:35], v[108:109], v[118:119]
	v_fmac_f64_e32 v[16:17], -0.5, v[34:35]
	v_fma_f64 v[36:37], s[14:15], v[30:31], v[16:17]
	v_fmac_f64_e32 v[16:17], s[10:11], v[30:31]
	v_fmac_f64_e32 v[36:37], s[0:1], v[26:27]
	;; [unrolled: 1-line block ×3, first 2 shown]
	v_add_f64 v[26:27], v[18:19], v[144:145]
	v_fmac_f64_e32 v[166:167], v[38:39], v[248:249]
	v_add_f64 v[34:35], v[110:111], -v[108:109]
	v_add_f64 v[38:39], v[138:139], -v[118:119]
	v_add_f64 v[26:27], v[26:27], v[136:137]
	v_add_f64 v[34:35], v[34:35], v[38:39]
	;; [unrolled: 1-line block ×3, first 2 shown]
	v_fmac_f64_e32 v[36:37], s[12:13], v[34:35]
	v_fmac_f64_e32 v[16:17], s[12:13], v[34:35]
	v_add_f64 v[34:35], v[26:27], v[112:113]
	v_add_f64 v[26:27], v[136:137], v[116:117]
	v_fma_f64 v[26:27], -0.5, v[26:27], v[18:19]
	v_add_f64 v[40:41], v[108:109], -v[118:119]
	v_fma_f64 v[30:31], s[14:15], v[40:41], v[26:27]
	v_add_f64 v[38:39], v[144:145], -v[136:137]
	v_fmac_f64_e32 v[26:27], s[10:11], v[40:41]
	v_fmac_f64_e32 v[30:31], s[16:17], v[42:43]
	v_add_f64 v[38:39], v[38:39], v[44:45]
	v_fmac_f64_e32 v[26:27], s[0:1], v[42:43]
	v_fmac_f64_e32 v[30:31], s[12:13], v[38:39]
	;; [unrolled: 1-line block ×3, first 2 shown]
	v_add_f64 v[38:39], v[144:145], v[112:113]
	v_fmac_f64_e32 v[18:19], -0.5, v[38:39]
	v_fma_f64 v[38:39], s[10:11], v[42:43], v[18:19]
	v_fmac_f64_e32 v[18:19], s[14:15], v[42:43]
	v_fmac_f64_e32 v[38:39], s[16:17], v[40:41]
	;; [unrolled: 1-line block ×3, first 2 shown]
	v_add_f64 v[40:41], v[12:13], v[114:115]
	v_add_f64 v[40:41], v[40:41], v[102:103]
	;; [unrolled: 1-line block ×3, first 2 shown]
	v_add_f64 v[44:45], v[136:137], -v[144:145]
	v_add_f64 v[48:49], v[40:41], v[94:95]
	v_add_f64 v[40:41], v[102:103], v[98:99]
	;; [unrolled: 1-line block ×3, first 2 shown]
	v_fma_f64 v[40:41], -0.5, v[40:41], v[12:13]
	v_add_f64 v[42:43], v[100:101], -v[88:89]
	v_fmac_f64_e32 v[38:39], s[12:13], v[44:45]
	v_fmac_f64_e32 v[18:19], s[12:13], v[44:45]
	v_fma_f64 v[44:45], s[10:11], v[42:43], v[40:41]
	v_add_f64 v[46:47], v[96:97], -v[92:93]
	v_fmac_f64_e32 v[40:41], s[14:15], v[42:43]
	v_fmac_f64_e32 v[44:45], s[0:1], v[46:47]
	v_fmac_f64_e32 v[40:41], s[16:17], v[46:47]
	v_fmac_f64_e32 v[44:45], s[12:13], v[50:51]
	v_fmac_f64_e32 v[40:41], s[12:13], v[50:51]
	v_add_f64 v[50:51], v[114:115], v[94:95]
	v_fmac_f64_e32 v[12:13], -0.5, v[50:51]
	v_fma_f64 v[52:53], s[14:15], v[46:47], v[12:13]
	v_fmac_f64_e32 v[12:13], s[10:11], v[46:47]
	v_fmac_f64_e32 v[52:53], s[0:1], v[42:43]
	;; [unrolled: 1-line block ×3, first 2 shown]
	v_add_f64 v[42:43], v[14:15], v[100:101]
	v_add_f64 v[50:51], v[102:103], -v[114:115]
	v_add_f64 v[42:43], v[42:43], v[96:97]
	v_add_f64 v[50:51], v[50:51], v[54:55]
	;; [unrolled: 1-line block ×3, first 2 shown]
	v_fmac_f64_e32 v[52:53], s[12:13], v[50:51]
	v_fmac_f64_e32 v[12:13], s[12:13], v[50:51]
	v_add_f64 v[50:51], v[42:43], v[88:89]
	v_add_f64 v[42:43], v[96:97], v[92:93]
	v_fma_f64 v[42:43], -0.5, v[42:43], v[14:15]
	v_fma_f64 v[46:47], s[14:15], v[56:57], v[42:43]
	v_add_f64 v[54:55], v[100:101], -v[96:97]
	v_fmac_f64_e32 v[42:43], s[10:11], v[56:57]
	v_fmac_f64_e32 v[46:47], s[16:17], v[58:59]
	v_add_f64 v[54:55], v[54:55], v[60:61]
	v_fmac_f64_e32 v[42:43], s[0:1], v[58:59]
	v_fmac_f64_e32 v[46:47], s[12:13], v[54:55]
	v_fmac_f64_e32 v[42:43], s[12:13], v[54:55]
	v_add_f64 v[54:55], v[100:101], v[88:89]
	v_fmac_f64_e32 v[14:15], -0.5, v[54:55]
	v_fma_f64 v[54:55], s[10:11], v[58:59], v[14:15]
	v_fmac_f64_e32 v[14:15], s[14:15], v[58:59]
	v_fmac_f64_e32 v[54:55], s[16:17], v[56:57]
	;; [unrolled: 1-line block ×3, first 2 shown]
	v_add_f64 v[56:57], v[8:9], v[90:91]
	v_add_f64 v[56:57], v[56:57], v[86:87]
	;; [unrolled: 1-line block ×3, first 2 shown]
	v_add_f64 v[60:61], v[96:97], -v[100:101]
	v_add_f64 v[64:65], v[56:57], v[78:79]
	v_add_f64 v[56:57], v[86:87], v[82:83]
	;; [unrolled: 1-line block ×3, first 2 shown]
	v_fma_f64 v[56:57], -0.5, v[56:57], v[8:9]
	v_add_f64 v[58:59], v[84:85], -v[72:73]
	v_fmac_f64_e32 v[54:55], s[12:13], v[60:61]
	v_fmac_f64_e32 v[14:15], s[12:13], v[60:61]
	v_fma_f64 v[60:61], s[10:11], v[58:59], v[56:57]
	v_add_f64 v[62:63], v[80:81], -v[76:77]
	v_fmac_f64_e32 v[56:57], s[14:15], v[58:59]
	v_fmac_f64_e32 v[60:61], s[0:1], v[62:63]
	v_fmac_f64_e32 v[56:57], s[16:17], v[62:63]
	v_fmac_f64_e32 v[60:61], s[12:13], v[66:67]
	v_fmac_f64_e32 v[56:57], s[12:13], v[66:67]
	v_add_f64 v[66:67], v[90:91], v[78:79]
	v_fmac_f64_e32 v[8:9], -0.5, v[66:67]
	v_fma_f64 v[68:69], s[14:15], v[62:63], v[8:9]
	v_fmac_f64_e32 v[8:9], s[10:11], v[62:63]
	v_fmac_f64_e32 v[68:69], s[0:1], v[58:59]
	;; [unrolled: 1-line block ×3, first 2 shown]
	v_add_f64 v[58:59], v[10:11], v[84:85]
	v_add_f64 v[66:67], v[86:87], -v[90:91]
	v_add_f64 v[58:59], v[58:59], v[80:81]
	v_add_f64 v[66:67], v[66:67], v[70:71]
	;; [unrolled: 1-line block ×3, first 2 shown]
	v_fmac_f64_e32 v[68:69], s[12:13], v[66:67]
	v_fmac_f64_e32 v[8:9], s[12:13], v[66:67]
	v_add_f64 v[66:67], v[58:59], v[72:73]
	v_add_f64 v[58:59], v[80:81], v[76:77]
	v_fma_f64 v[58:59], -0.5, v[58:59], v[10:11]
	v_fma_f64 v[62:63], s[14:15], v[74:75], v[58:59]
	v_add_f64 v[78:79], v[86:87], -v[82:83]
	v_add_f64 v[70:71], v[84:85], -v[80:81]
	v_add_f64 v[82:83], v[72:73], -v[76:77]
	v_fmac_f64_e32 v[58:59], s[10:11], v[74:75]
	v_fmac_f64_e32 v[62:63], s[16:17], v[78:79]
	v_add_f64 v[70:71], v[70:71], v[82:83]
	v_fmac_f64_e32 v[58:59], s[0:1], v[78:79]
	v_fmac_f64_e32 v[62:63], s[12:13], v[70:71]
	;; [unrolled: 1-line block ×3, first 2 shown]
	v_add_f64 v[70:71], v[84:85], v[72:73]
	v_fmac_f64_e32 v[10:11], -0.5, v[70:71]
	v_fma_f64 v[70:71], s[10:11], v[78:79], v[10:11]
	v_add_f64 v[80:81], v[80:81], -v[84:85]
	v_add_f64 v[72:73], v[76:77], -v[72:73]
	v_fmac_f64_e32 v[10:11], s[14:15], v[78:79]
	v_fmac_f64_e32 v[70:71], s[16:17], v[74:75]
	v_add_f64 v[72:73], v[80:81], v[72:73]
	v_fmac_f64_e32 v[10:11], s[0:1], v[74:75]
	v_fmac_f64_e32 v[70:71], s[12:13], v[72:73]
	;; [unrolled: 1-line block ×3, first 2 shown]
	v_add_f64 v[72:73], v[4:5], v[126:127]
	v_add_f64 v[72:73], v[72:73], v[152:153]
	;; [unrolled: 1-line block ×5, first 2 shown]
	v_fma_f64 v[72:73], -0.5, v[72:73], v[4:5]
	v_add_f64 v[74:75], v[146:147], -v[124:125]
	v_fma_f64 v[76:77], s[10:11], v[74:75], v[72:73]
	v_add_f64 v[78:79], v[120:121], -v[122:123]
	v_add_f64 v[82:83], v[126:127], -v[152:153]
	;; [unrolled: 1-line block ×3, first 2 shown]
	v_fmac_f64_e32 v[72:73], s[14:15], v[74:75]
	v_fmac_f64_e32 v[76:77], s[0:1], v[78:79]
	v_add_f64 v[82:83], v[82:83], v[84:85]
	v_fmac_f64_e32 v[72:73], s[16:17], v[78:79]
	v_fmac_f64_e32 v[76:77], s[12:13], v[82:83]
	;; [unrolled: 1-line block ×3, first 2 shown]
	v_add_f64 v[82:83], v[126:127], v[128:129]
	v_fmac_f64_e32 v[4:5], -0.5, v[82:83]
	v_fma_f64 v[84:85], s[14:15], v[78:79], v[4:5]
	v_fmac_f64_e32 v[4:5], s[10:11], v[78:79]
	v_fmac_f64_e32 v[84:85], s[0:1], v[74:75]
	v_fmac_f64_e32 v[4:5], s[16:17], v[74:75]
	v_add_f64 v[74:75], v[6:7], v[146:147]
	v_add_f64 v[82:83], v[152:153], -v[126:127]
	v_add_f64 v[86:87], v[154:155], -v[128:129]
	v_add_f64 v[74:75], v[74:75], v[120:121]
	v_add_f64 v[82:83], v[82:83], v[86:87]
	;; [unrolled: 1-line block ×3, first 2 shown]
	v_fmac_f64_e32 v[84:85], s[12:13], v[82:83]
	v_fmac_f64_e32 v[4:5], s[12:13], v[82:83]
	v_add_f64 v[82:83], v[74:75], v[124:125]
	v_add_f64 v[74:75], v[120:121], v[122:123]
	v_fma_f64 v[74:75], -0.5, v[74:75], v[6:7]
	v_add_f64 v[88:89], v[126:127], -v[128:129]
	v_fma_f64 v[78:79], s[14:15], v[88:89], v[74:75]
	v_add_f64 v[90:91], v[152:153], -v[154:155]
	v_add_f64 v[86:87], v[146:147], -v[120:121]
	;; [unrolled: 1-line block ×3, first 2 shown]
	v_fmac_f64_e32 v[74:75], s[10:11], v[88:89]
	v_fmac_f64_e32 v[78:79], s[16:17], v[90:91]
	v_add_f64 v[86:87], v[86:87], v[92:93]
	v_fmac_f64_e32 v[74:75], s[0:1], v[90:91]
	v_fmac_f64_e32 v[78:79], s[12:13], v[86:87]
	;; [unrolled: 1-line block ×3, first 2 shown]
	v_add_f64 v[86:87], v[146:147], v[124:125]
	v_fmac_f64_e32 v[6:7], -0.5, v[86:87]
	v_fma_f64 v[86:87], s[10:11], v[90:91], v[6:7]
	v_fmac_f64_e32 v[6:7], s[14:15], v[90:91]
	v_fmac_f64_e32 v[86:87], s[16:17], v[88:89]
	;; [unrolled: 1-line block ×3, first 2 shown]
	v_add_f64 v[88:89], v[0:1], v[158:159]
	v_add_f64 v[88:89], v[88:89], v[160:161]
	;; [unrolled: 1-line block ×3, first 2 shown]
	v_add_f64 v[92:93], v[120:121], -v[146:147]
	v_add_f64 v[94:95], v[122:123], -v[124:125]
	v_add_f64 v[96:97], v[88:89], v[164:165]
	v_add_f64 v[88:89], v[160:161], v[162:163]
	;; [unrolled: 1-line block ×3, first 2 shown]
	v_fma_f64 v[88:89], -0.5, v[88:89], v[0:1]
	v_add_f64 v[90:91], v[130:131], -v[156:157]
	v_fmac_f64_e32 v[86:87], s[12:13], v[92:93]
	v_fmac_f64_e32 v[6:7], s[12:13], v[92:93]
	v_fma_f64 v[92:93], s[10:11], v[90:91], v[88:89]
	v_add_f64 v[94:95], v[132:133], -v[134:135]
	v_add_f64 v[98:99], v[158:159], -v[160:161]
	;; [unrolled: 1-line block ×3, first 2 shown]
	v_fmac_f64_e32 v[88:89], s[14:15], v[90:91]
	v_fmac_f64_e32 v[92:93], s[0:1], v[94:95]
	v_add_f64 v[98:99], v[98:99], v[100:101]
	v_fmac_f64_e32 v[88:89], s[16:17], v[94:95]
	v_fmac_f64_e32 v[92:93], s[12:13], v[98:99]
	;; [unrolled: 1-line block ×3, first 2 shown]
	v_add_f64 v[98:99], v[158:159], v[164:165]
	v_fmac_f64_e32 v[0:1], -0.5, v[98:99]
	v_fma_f64 v[100:101], s[14:15], v[94:95], v[0:1]
	v_fmac_f64_e32 v[0:1], s[10:11], v[94:95]
	v_fmac_f64_e32 v[100:101], s[0:1], v[90:91]
	;; [unrolled: 1-line block ×3, first 2 shown]
	v_add_f64 v[90:91], v[2:3], v[130:131]
	v_add_f64 v[98:99], v[160:161], -v[158:159]
	v_add_f64 v[102:103], v[162:163], -v[164:165]
	v_add_f64 v[90:91], v[90:91], v[132:133]
	v_add_f64 v[98:99], v[98:99], v[102:103]
	;; [unrolled: 1-line block ×3, first 2 shown]
	v_fmac_f64_e32 v[100:101], s[12:13], v[98:99]
	v_fmac_f64_e32 v[0:1], s[12:13], v[98:99]
	v_add_f64 v[98:99], v[90:91], v[156:157]
	v_add_f64 v[90:91], v[132:133], v[134:135]
	v_fma_f64 v[90:91], -0.5, v[90:91], v[2:3]
	v_add_f64 v[104:105], v[158:159], -v[164:165]
	v_fma_f64 v[94:95], s[14:15], v[104:105], v[90:91]
	v_add_f64 v[106:107], v[160:161], -v[162:163]
	v_add_f64 v[102:103], v[130:131], -v[132:133]
	;; [unrolled: 1-line block ×3, first 2 shown]
	v_fmac_f64_e32 v[90:91], s[10:11], v[104:105]
	v_fmac_f64_e32 v[94:95], s[16:17], v[106:107]
	v_add_f64 v[102:103], v[102:103], v[108:109]
	v_fmac_f64_e32 v[90:91], s[0:1], v[106:107]
	v_fmac_f64_e32 v[94:95], s[12:13], v[102:103]
	;; [unrolled: 1-line block ×3, first 2 shown]
	v_add_f64 v[102:103], v[130:131], v[156:157]
	v_fmac_f64_e32 v[2:3], -0.5, v[102:103]
	v_fma_f64 v[102:103], s[10:11], v[106:107], v[2:3]
	v_fmac_f64_e32 v[2:3], s[14:15], v[106:107]
	v_fmac_f64_e32 v[102:103], s[16:17], v[104:105]
	;; [unrolled: 1-line block ×3, first 2 shown]
	v_add_f64 v[104:105], v[252:253], v[176:177]
	v_add_f64 v[104:105], v[104:105], v[180:181]
	;; [unrolled: 1-line block ×3, first 2 shown]
	v_add_f64 v[108:109], v[132:133], -v[130:131]
	v_add_f64 v[110:111], v[134:135], -v[156:157]
	v_add_f64 v[116:117], v[104:105], v[184:185]
	v_add_f64 v[104:105], v[180:181], v[182:183]
	;; [unrolled: 1-line block ×3, first 2 shown]
	v_fma_f64 v[144:145], -0.5, v[104:105], v[252:253]
	v_add_f64 v[104:105], v[166:167], -v[178:179]
	v_fmac_f64_e32 v[102:103], s[12:13], v[108:109]
	v_fmac_f64_e32 v[2:3], s[12:13], v[108:109]
	v_fma_f64 v[112:113], s[10:11], v[104:105], v[144:145]
	v_add_f64 v[106:107], v[168:169], -v[170:171]
	v_add_f64 v[108:109], v[176:177], -v[180:181]
	v_add_f64 v[110:111], v[184:185], -v[182:183]
	v_fmac_f64_e32 v[144:145], s[14:15], v[104:105]
	v_fmac_f64_e32 v[112:113], s[0:1], v[106:107]
	v_add_f64 v[108:109], v[108:109], v[110:111]
	v_fmac_f64_e32 v[144:145], s[16:17], v[106:107]
	v_fmac_f64_e32 v[112:113], s[12:13], v[108:109]
	;; [unrolled: 1-line block ×3, first 2 shown]
	v_add_f64 v[108:109], v[176:177], v[184:185]
	v_fmac_f64_e32 v[252:253], -0.5, v[108:109]
	v_fma_f64 v[136:137], s[14:15], v[106:107], v[252:253]
	v_fmac_f64_e32 v[252:253], s[10:11], v[106:107]
	v_fmac_f64_e32 v[136:137], s[0:1], v[104:105]
	;; [unrolled: 1-line block ×3, first 2 shown]
	v_add_f64 v[104:105], v[254:255], v[166:167]
	v_add_f64 v[104:105], v[104:105], v[168:169]
	;; [unrolled: 1-line block ×3, first 2 shown]
	v_add_f64 v[108:109], v[180:181], -v[176:177]
	v_add_f64 v[110:111], v[182:183], -v[184:185]
	v_add_f64 v[118:119], v[104:105], v[178:179]
	v_add_f64 v[104:105], v[168:169], v[170:171]
	;; [unrolled: 1-line block ×3, first 2 shown]
	v_fma_f64 v[146:147], -0.5, v[104:105], v[254:255]
	v_add_f64 v[104:105], v[176:177], -v[184:185]
	v_fmac_f64_e32 v[136:137], s[12:13], v[108:109]
	v_fmac_f64_e32 v[252:253], s[12:13], v[108:109]
	v_fma_f64 v[114:115], s[14:15], v[104:105], v[146:147]
	v_add_f64 v[106:107], v[180:181], -v[182:183]
	v_add_f64 v[108:109], v[166:167], -v[168:169]
	;; [unrolled: 1-line block ×3, first 2 shown]
	v_fmac_f64_e32 v[146:147], s[10:11], v[104:105]
	v_fmac_f64_e32 v[114:115], s[16:17], v[106:107]
	v_add_f64 v[108:109], v[108:109], v[110:111]
	v_fmac_f64_e32 v[146:147], s[0:1], v[106:107]
	v_fmac_f64_e32 v[114:115], s[12:13], v[108:109]
	v_fmac_f64_e32 v[146:147], s[12:13], v[108:109]
	v_add_f64 v[108:109], v[166:167], v[178:179]
	v_fmac_f64_e32 v[254:255], -0.5, v[108:109]
	v_fma_f64 v[138:139], s[10:11], v[106:107], v[254:255]
	v_add_f64 v[108:109], v[168:169], -v[166:167]
	v_add_f64 v[110:111], v[170:171], -v[178:179]
	v_fmac_f64_e32 v[254:255], s[14:15], v[106:107]
	v_fmac_f64_e32 v[138:139], s[16:17], v[104:105]
	v_add_f64 v[108:109], v[108:109], v[110:111]
	v_fmac_f64_e32 v[254:255], s[0:1], v[104:105]
	v_lshl_add_u32 v180, v226, 4, v208
	v_fmac_f64_e32 v[138:139], s[12:13], v[108:109]
	v_fmac_f64_e32 v[254:255], s[12:13], v[108:109]
	ds_write_b128 v222, v[212:215]
	ds_write_b128 v180, v[192:195] offset:1904
	ds_write_b128 v180, v[172:175] offset:3808
	;; [unrolled: 1-line block ×34, first 2 shown]
	v_lshlrev_b32_e32 v0, 4, v226
	s_waitcnt lgkmcnt(0)
	; wave barrier
	s_waitcnt lgkmcnt(0)
	global_load_dwordx4 v[8:11], v0, s[8:9]
	ds_read_b128 v[4:7], v222
	v_mov_b32_e32 v1, 0
	v_lshl_add_u64 v[2:3], s[8:9], 0, v[0:1]
	s_movk_i32 s0, 0x1000
	v_accvgpr_read_b32 v1, a47
	s_mov_b32 s10, 0x429ad128
	s_mov_b32 s11, 0xbfebfeb5
	;; [unrolled: 1-line block ×9, first 2 shown]
	s_waitcnt vmcnt(0) lgkmcnt(0)
	v_mul_f64 v[12:13], v[6:7], v[10:11]
	v_mul_f64 v[14:15], v[4:5], v[10:11]
	v_fma_f64 v[12:13], v[4:5], v[8:9], -v[12:13]
	v_fmac_f64_e32 v[14:15], v[6:7], v[8:9]
	global_load_dwordx4 v[8:11], v0, s[8:9] offset:1360
	ds_read_b128 v[4:7], v222 offset:1360
	ds_write_b128 v222, v[12:15]
	s_waitcnt vmcnt(0) lgkmcnt(1)
	v_mul_f64 v[12:13], v[6:7], v[10:11]
	v_mul_f64 v[14:15], v[4:5], v[10:11]
	v_fma_f64 v[12:13], v[4:5], v[8:9], -v[12:13]
	v_fmac_f64_e32 v[14:15], v[6:7], v[8:9]
	global_load_dwordx4 v[8:11], v0, s[8:9] offset:2720
	ds_read_b128 v[4:7], v222 offset:2720
	ds_write_b128 v222, v[12:15] offset:1360
	s_waitcnt vmcnt(0) lgkmcnt(1)
	v_mul_f64 v[12:13], v[6:7], v[10:11]
	v_mul_f64 v[14:15], v[4:5], v[10:11]
	v_fma_f64 v[12:13], v[4:5], v[8:9], -v[12:13]
	v_fmac_f64_e32 v[14:15], v[6:7], v[8:9]
	global_load_dwordx4 v[8:11], v0, s[8:9] offset:4080
	ds_read_b128 v[4:7], v222 offset:4080
	ds_write_b128 v222, v[12:15] offset:2720
	s_waitcnt vmcnt(0) lgkmcnt(1)
	v_mul_f64 v[14:15], v[4:5], v[10:11]
	v_mul_f64 v[12:13], v[6:7], v[10:11]
	v_fmac_f64_e32 v[14:15], v[6:7], v[8:9]
	v_add_co_u32_e64 v6, s[0:1], s0, v2
	v_fma_f64 v[12:13], v[4:5], v[8:9], -v[12:13]
	s_nop 0
	v_addc_co_u32_e64 v7, s[0:1], 0, v3, s[0:1]
	ds_write_b128 v222, v[12:15] offset:4080
	global_load_dwordx4 v[12:15], v[6:7], off offset:1344
	ds_read_b128 v[8:11], v222 offset:5440
	s_movk_i32 s0, 0x2000
	s_waitcnt vmcnt(0) lgkmcnt(0)
	v_mul_f64 v[4:5], v[10:11], v[14:15]
	v_mul_f64 v[18:19], v[8:9], v[14:15]
	v_fma_f64 v[16:17], v[8:9], v[12:13], -v[4:5]
	v_fmac_f64_e32 v[18:19], v[10:11], v[12:13]
	global_load_dwordx4 v[12:15], v[6:7], off offset:2704
	ds_read_b128 v[8:11], v222 offset:6800
	ds_write_b128 v222, v[16:19] offset:5440
	s_waitcnt vmcnt(0) lgkmcnt(1)
	v_mul_f64 v[4:5], v[10:11], v[14:15]
	v_mul_f64 v[18:19], v[8:9], v[14:15]
	v_fma_f64 v[16:17], v[8:9], v[12:13], -v[4:5]
	v_fmac_f64_e32 v[18:19], v[10:11], v[12:13]
	global_load_dwordx4 v[12:15], v[6:7], off offset:4064
	ds_read_b128 v[8:11], v222 offset:8160
	ds_write_b128 v222, v[16:19] offset:6800
	s_waitcnt vmcnt(0) lgkmcnt(1)
	v_mul_f64 v[4:5], v[10:11], v[14:15]
	v_mul_f64 v[18:19], v[8:9], v[14:15]
	v_fma_f64 v[16:17], v[8:9], v[12:13], -v[4:5]
	v_fmac_f64_e32 v[18:19], v[10:11], v[12:13]
	global_load_dwordx4 v[12:15], v0, s[8:9] offset:272
	ds_read_b128 v[8:11], v222 offset:272
	ds_write_b128 v222, v[16:19] offset:8160
	s_waitcnt vmcnt(0) lgkmcnt(1)
	v_mul_f64 v[4:5], v[10:11], v[14:15]
	v_mul_f64 v[18:19], v[8:9], v[14:15]
	v_fma_f64 v[16:17], v[8:9], v[12:13], -v[4:5]
	v_fmac_f64_e32 v[18:19], v[10:11], v[12:13]
	global_load_dwordx4 v[12:15], v0, s[8:9] offset:1632
	;; [unrolled: 8-line block ×3, first 2 shown]
	ds_read_b128 v[8:11], v222 offset:2992
	ds_write_b128 v222, v[16:19] offset:1632
	s_waitcnt vmcnt(0) lgkmcnt(1)
	v_mul_f64 v[4:5], v[10:11], v[14:15]
	v_mul_f64 v[18:19], v[8:9], v[14:15]
	v_fma_f64 v[16:17], v[8:9], v[12:13], -v[4:5]
	v_fmac_f64_e32 v[18:19], v[10:11], v[12:13]
	global_load_dwordx4 v[12:15], v[6:7], off offset:256
	ds_read_b128 v[8:11], v222 offset:4352
	ds_write_b128 v222, v[16:19] offset:2992
	s_waitcnt vmcnt(0) lgkmcnt(1)
	v_mul_f64 v[4:5], v[10:11], v[14:15]
	v_mul_f64 v[18:19], v[8:9], v[14:15]
	v_fma_f64 v[16:17], v[8:9], v[12:13], -v[4:5]
	v_fmac_f64_e32 v[18:19], v[10:11], v[12:13]
	global_load_dwordx4 v[12:15], v[6:7], off offset:1616
	;; [unrolled: 8-line block ×3, first 2 shown]
	ds_read_b128 v[8:11], v222 offset:7072
	ds_write_b128 v222, v[16:19] offset:5712
	s_waitcnt vmcnt(0) lgkmcnt(1)
	v_mul_f64 v[4:5], v[10:11], v[14:15]
	v_fma_f64 v[16:17], v[8:9], v[12:13], -v[4:5]
	v_add_co_u32_e64 v4, s[0:1], s0, v2
	v_mul_f64 v[18:19], v[8:9], v[14:15]
	s_nop 0
	v_addc_co_u32_e64 v5, s[0:1], 0, v3, s[0:1]
	v_fmac_f64_e32 v[18:19], v[10:11], v[12:13]
	global_load_dwordx4 v[12:15], v[4:5], off offset:240
	ds_read_b128 v[8:11], v222 offset:8432
	ds_write_b128 v222, v[16:19] offset:7072
	s_mov_b32 s0, 0x37c3f68c
	s_mov_b32 s1, 0xbfdc38aa
	s_waitcnt vmcnt(0) lgkmcnt(1)
	v_mul_f64 v[2:3], v[10:11], v[14:15]
	v_mul_f64 v[18:19], v[8:9], v[14:15]
	v_fma_f64 v[16:17], v[8:9], v[12:13], -v[2:3]
	v_fmac_f64_e32 v[18:19], v[10:11], v[12:13]
	global_load_dwordx4 v[12:15], v0, s[8:9] offset:544
	ds_read_b128 v[8:11], v222 offset:544
	ds_write_b128 v222, v[16:19] offset:8432
	s_waitcnt vmcnt(0) lgkmcnt(1)
	v_mul_f64 v[2:3], v[10:11], v[14:15]
	v_mul_f64 v[18:19], v[8:9], v[14:15]
	v_fma_f64 v[16:17], v[8:9], v[12:13], -v[2:3]
	v_fmac_f64_e32 v[18:19], v[10:11], v[12:13]
	global_load_dwordx4 v[12:15], v0, s[8:9] offset:1904
	ds_read_b128 v[8:11], v222 offset:1904
	ds_write_b128 v222, v[16:19] offset:544
	;; [unrolled: 8-line block ×3, first 2 shown]
	s_waitcnt vmcnt(0) lgkmcnt(1)
	v_mul_f64 v[2:3], v[10:11], v[14:15]
	v_mul_f64 v[18:19], v[8:9], v[14:15]
	v_fma_f64 v[16:17], v[8:9], v[12:13], -v[2:3]
	v_fmac_f64_e32 v[18:19], v[10:11], v[12:13]
	global_load_dwordx4 v[12:15], v[6:7], off offset:528
	ds_read_b128 v[8:11], v222 offset:4624
	ds_write_b128 v222, v[16:19] offset:3264
	s_waitcnt vmcnt(0) lgkmcnt(1)
	v_mul_f64 v[2:3], v[10:11], v[14:15]
	v_mul_f64 v[18:19], v[8:9], v[14:15]
	v_fma_f64 v[16:17], v[8:9], v[12:13], -v[2:3]
	v_fmac_f64_e32 v[18:19], v[10:11], v[12:13]
	global_load_dwordx4 v[12:15], v[6:7], off offset:1888
	ds_read_b128 v[8:11], v222 offset:5984
	ds_write_b128 v222, v[16:19] offset:4624
	;; [unrolled: 8-line block ×3, first 2 shown]
	s_waitcnt vmcnt(0) lgkmcnt(1)
	v_mul_f64 v[2:3], v[10:11], v[14:15]
	v_mul_f64 v[18:19], v[8:9], v[14:15]
	v_fma_f64 v[16:17], v[8:9], v[12:13], -v[2:3]
	v_fmac_f64_e32 v[18:19], v[10:11], v[12:13]
	global_load_dwordx4 v[12:15], v1, s[8:9]
	ds_read_b128 v[8:11], v222 offset:8704
	ds_write_b128 v222, v[16:19] offset:7344
	s_waitcnt vmcnt(0) lgkmcnt(1)
	v_mul_f64 v[2:3], v[10:11], v[14:15]
	v_mul_f64 v[18:19], v[8:9], v[14:15]
	v_fma_f64 v[16:17], v[8:9], v[12:13], -v[2:3]
	v_fmac_f64_e32 v[18:19], v[10:11], v[12:13]
	global_load_dwordx4 v[12:15], v0, s[8:9] offset:816
	ds_read_b128 v[8:11], v222 offset:816
	ds_write_b128 v222, v[16:19] offset:8704
	s_waitcnt vmcnt(0) lgkmcnt(1)
	v_mul_f64 v[2:3], v[10:11], v[14:15]
	v_mul_f64 v[18:19], v[8:9], v[14:15]
	v_fma_f64 v[16:17], v[8:9], v[12:13], -v[2:3]
	v_fmac_f64_e32 v[18:19], v[10:11], v[12:13]
	global_load_dwordx4 v[12:15], v0, s[8:9] offset:2176
	;; [unrolled: 8-line block ×3, first 2 shown]
	ds_read_b128 v[8:11], v222 offset:3536
	ds_write_b128 v222, v[16:19] offset:2176
	s_waitcnt vmcnt(0) lgkmcnt(1)
	v_mul_f64 v[2:3], v[10:11], v[14:15]
	v_mul_f64 v[18:19], v[8:9], v[14:15]
	v_fma_f64 v[16:17], v[8:9], v[12:13], -v[2:3]
	v_fmac_f64_e32 v[18:19], v[10:11], v[12:13]
	global_load_dwordx4 v[12:15], v[6:7], off offset:800
	ds_read_b128 v[8:11], v222 offset:4896
	ds_write_b128 v222, v[16:19] offset:3536
	s_waitcnt vmcnt(0) lgkmcnt(1)
	v_mul_f64 v[2:3], v[10:11], v[14:15]
	v_mul_f64 v[18:19], v[8:9], v[14:15]
	v_fma_f64 v[16:17], v[8:9], v[12:13], -v[2:3]
	v_fmac_f64_e32 v[18:19], v[10:11], v[12:13]
	global_load_dwordx4 v[12:15], v[6:7], off offset:2160
	;; [unrolled: 8-line block ×4, first 2 shown]
	ds_read_b128 v[8:11], v222 offset:8976
	ds_write_b128 v222, v[16:19] offset:7616
	s_waitcnt vmcnt(0) lgkmcnt(1)
	v_mul_f64 v[2:3], v[10:11], v[14:15]
	v_mul_f64 v[18:19], v[8:9], v[14:15]
	v_fma_f64 v[16:17], v[8:9], v[12:13], -v[2:3]
	v_fmac_f64_e32 v[18:19], v[10:11], v[12:13]
	global_load_dwordx4 v[12:15], v0, s[8:9] offset:1088
	ds_read_b128 v[8:11], v222 offset:1088
	ds_write_b128 v222, v[16:19] offset:8976
	s_waitcnt vmcnt(0) lgkmcnt(1)
	v_mul_f64 v[2:3], v[10:11], v[14:15]
	v_mul_f64 v[18:19], v[8:9], v[14:15]
	v_fma_f64 v[16:17], v[8:9], v[12:13], -v[2:3]
	v_fmac_f64_e32 v[18:19], v[10:11], v[12:13]
	global_load_dwordx4 v[12:15], v0, s[8:9] offset:2448
	ds_read_b128 v[8:11], v222 offset:2448
	ds_write_b128 v222, v[16:19] offset:1088
	s_waitcnt vmcnt(0) lgkmcnt(1)
	v_mul_f64 v[2:3], v[10:11], v[14:15]
	v_fma_f64 v[16:17], v[8:9], v[12:13], -v[2:3]
	global_load_dwordx4 v[0:3], v0, s[8:9] offset:3808
	v_mul_f64 v[18:19], v[8:9], v[14:15]
	v_fmac_f64_e32 v[18:19], v[10:11], v[12:13]
	ds_read_b128 v[8:11], v222 offset:3808
	ds_write_b128 v222, v[16:19] offset:2448
	s_mov_b32 s8, 0x36b3c0b5
	s_mov_b32 s9, 0x3fac98ee
	s_waitcnt vmcnt(0) lgkmcnt(1)
	v_mul_f64 v[12:13], v[10:11], v[2:3]
	v_mul_f64 v[14:15], v[8:9], v[2:3]
	v_fma_f64 v[12:13], v[8:9], v[0:1], -v[12:13]
	v_fmac_f64_e32 v[14:15], v[10:11], v[0:1]
	global_load_dwordx4 v[8:11], v[6:7], off offset:1072
	ds_read_b128 v[0:3], v222 offset:5168
	ds_write_b128 v222, v[12:15] offset:3808
	s_waitcnt vmcnt(0) lgkmcnt(1)
	v_mul_f64 v[12:13], v[2:3], v[10:11]
	v_mul_f64 v[14:15], v[0:1], v[10:11]
	v_fma_f64 v[12:13], v[0:1], v[8:9], -v[12:13]
	v_fmac_f64_e32 v[14:15], v[2:3], v[8:9]
	global_load_dwordx4 v[8:11], v[6:7], off offset:2432
	ds_read_b128 v[0:3], v222 offset:6528
	ds_write_b128 v222, v[12:15] offset:5168
	;; [unrolled: 8-line block ×4, first 2 shown]
	s_waitcnt vmcnt(0) lgkmcnt(1)
	v_mul_f64 v[8:9], v[2:3], v[6:7]
	v_mul_f64 v[10:11], v[0:1], v[6:7]
	v_fma_f64 v[8:9], v[0:1], v[4:5], -v[8:9]
	v_fmac_f64_e32 v[10:11], v[2:3], v[4:5]
	ds_write_b128 v222, v[8:11] offset:9248
	s_waitcnt lgkmcnt(0)
	; wave barrier
	s_waitcnt lgkmcnt(0)
	ds_read_b128 v[4:7], v222
	ds_read_b128 v[8:11], v222 offset:1360
	ds_read_b128 v[20:23], v222 offset:2720
	;; [unrolled: 1-line block ×34, first 2 shown]
	s_waitcnt lgkmcnt(14)
	v_add_f64 v[104:105], v[8:9], v[28:29]
	v_add_f64 v[8:9], v[8:9], -v[28:29]
	v_add_f64 v[28:29], v[20:21], v[24:25]
	v_add_f64 v[106:107], v[10:11], v[30:31]
	v_add_f64 v[10:11], v[10:11], -v[30:31]
	v_add_f64 v[30:31], v[22:23], v[26:27]
	v_add_f64 v[20:21], v[20:21], -v[24:25]
	;; [unrolled: 2-line block ×5, first 2 shown]
	v_add_f64 v[18:19], v[30:31], v[106:107]
	v_add_f64 v[16:17], v[24:25], v[16:17]
	;; [unrolled: 1-line block ×4, first 2 shown]
	v_add_f64 v[108:109], v[28:29], -v[104:105]
	v_add_f64 v[110:111], v[30:31], -v[106:107]
	;; [unrolled: 1-line block ×6, first 2 shown]
	v_add_f64 v[120:121], v[12:13], v[20:21]
	v_add_f64 v[122:123], v[14:15], v[22:23]
	v_add_f64 v[124:125], v[12:13], -v[20:21]
	v_add_f64 v[126:127], v[14:15], -v[22:23]
	;; [unrolled: 1-line block ×4, first 2 shown]
	v_add_f64 v[6:7], v[6:7], v[18:19]
	v_mov_b64_e32 v[128:129], v[4:5]
	v_add_f64 v[12:13], v[8:9], -v[12:13]
	v_add_f64 v[14:15], v[10:11], -v[14:15]
	v_add_f64 v[8:9], v[120:121], v[8:9]
	v_add_f64 v[10:11], v[122:123], v[10:11]
	v_mul_f64 v[24:25], v[104:105], s[22:23]
	v_mul_f64 v[26:27], v[106:107], s[22:23]
	;; [unrolled: 1-line block ×8, first 2 shown]
	v_fmac_f64_e32 v[128:129], s[20:21], v[16:17]
	v_mov_b64_e32 v[16:17], v[6:7]
	v_fmac_f64_e32 v[16:17], s[20:21], v[18:19]
	v_fma_f64 v[18:19], v[108:109], s[12:13], -v[104:105]
	v_fma_f64 v[104:105], v[110:111], s[12:13], -v[106:107]
	;; [unrolled: 1-line block ×4, first 2 shown]
	v_fmac_f64_e32 v[120:121], s[16:17], v[12:13]
	v_fma_f64 v[124:125], v[12:13], s[18:19], -v[124:125]
	v_fma_f64 v[12:13], v[14:15], s[18:19], -v[126:127]
	v_fmac_f64_e32 v[24:25], s[8:9], v[28:29]
	v_fma_f64 v[28:29], v[110:111], s[14:15], -v[26:27]
	v_fma_f64 v[110:111], v[22:23], s[10:11], -v[122:123]
	v_fmac_f64_e32 v[122:123], s[16:17], v[14:15]
	v_add_f64 v[14:15], v[18:19], v[128:129]
	v_add_f64 v[18:19], v[104:105], v[16:17]
	;; [unrolled: 1-line block ×3, first 2 shown]
	v_fmac_f64_e32 v[12:13], s[0:1], v[10:11]
	v_fmac_f64_e32 v[26:27], s[8:9], v[30:31]
	v_add_f64 v[126:127], v[24:25], v[128:129]
	v_add_f64 v[106:107], v[28:29], v[16:17]
	v_fmac_f64_e32 v[110:111], s[0:1], v[10:11]
	v_fmac_f64_e32 v[124:125], s[0:1], v[8:9]
	v_add_f64 v[24:25], v[104:105], v[12:13]
	v_add_f64 v[12:13], v[104:105], -v[12:13]
	v_add_f64 v[104:105], v[36:37], v[56:57]
	v_add_f64 v[36:37], v[36:37], -v[56:57]
	v_add_f64 v[56:57], v[44:45], v[52:53]
	v_add_f64 v[130:131], v[26:27], v[16:17]
	v_add_f64 v[26:27], v[106:107], -v[124:125]
	v_add_f64 v[20:21], v[14:15], -v[110:111]
	v_add_f64 v[16:17], v[14:15], v[110:111]
	v_add_f64 v[14:15], v[124:125], v[106:107]
	;; [unrolled: 1-line block ×3, first 2 shown]
	v_add_f64 v[38:39], v[38:39], -v[58:59]
	v_add_f64 v[58:59], v[46:47], v[54:55]
	v_add_f64 v[44:45], v[44:45], -v[52:53]
	v_add_f64 v[52:53], v[40:41], v[48:49]
	v_add_f64 v[40:41], v[48:49], -v[40:41]
	v_add_f64 v[48:49], v[56:57], v[104:105]
	v_add_f64 v[46:47], v[46:47], -v[54:55]
	v_add_f64 v[54:55], v[42:43], v[50:51]
	v_add_f64 v[42:43], v[50:51], -v[42:43]
	v_add_f64 v[50:51], v[58:59], v[106:107]
	v_add_f64 v[48:49], v[52:53], v[48:49]
	v_fmac_f64_e32 v[120:121], s[0:1], v[8:9]
	v_fmac_f64_e32 v[122:123], s[0:1], v[10:11]
	;; [unrolled: 1-line block ×3, first 2 shown]
	v_add_f64 v[50:51], v[54:55], v[50:51]
	v_add_f64 v[32:33], v[32:33], v[48:49]
	;; [unrolled: 1-line block ×3, first 2 shown]
	v_add_f64 v[30:31], v[130:131], -v[120:121]
	v_add_f64 v[22:23], v[108:109], v[18:19]
	v_add_f64 v[18:19], v[18:19], -v[108:109]
	v_add_f64 v[8:9], v[126:127], -v[122:123]
	v_add_f64 v[10:11], v[120:121], v[130:131]
	v_add_f64 v[108:109], v[56:57], -v[104:105]
	v_add_f64 v[110:111], v[58:59], -v[106:107]
	;; [unrolled: 1-line block ×6, first 2 shown]
	v_add_f64 v[120:121], v[40:41], v[44:45]
	v_add_f64 v[122:123], v[42:43], v[46:47]
	v_add_f64 v[124:125], v[40:41], -v[44:45]
	v_add_f64 v[126:127], v[42:43], -v[46:47]
	;; [unrolled: 1-line block ×4, first 2 shown]
	v_add_f64 v[34:35], v[34:35], v[50:51]
	v_mov_b64_e32 v[128:129], v[32:33]
	v_add_f64 v[40:41], v[36:37], -v[40:41]
	v_add_f64 v[42:43], v[38:39], -v[42:43]
	v_add_f64 v[36:37], v[120:121], v[36:37]
	v_add_f64 v[38:39], v[122:123], v[38:39]
	v_mul_f64 v[52:53], v[104:105], s[22:23]
	v_mul_f64 v[54:55], v[106:107], s[22:23]
	;; [unrolled: 1-line block ×8, first 2 shown]
	v_fmac_f64_e32 v[128:129], s[20:21], v[48:49]
	v_mov_b64_e32 v[48:49], v[34:35]
	v_fmac_f64_e32 v[48:49], s[20:21], v[50:51]
	v_fma_f64 v[50:51], v[108:109], s[12:13], -v[104:105]
	v_fma_f64 v[104:105], v[110:111], s[12:13], -v[106:107]
	;; [unrolled: 1-line block ×3, first 2 shown]
	v_fmac_f64_e32 v[52:53], s[8:9], v[56:57]
	v_fma_f64 v[56:57], v[110:111], s[14:15], -v[54:55]
	v_fma_f64 v[108:109], v[44:45], s[10:11], -v[120:121]
	v_fmac_f64_e32 v[120:121], s[16:17], v[40:41]
	v_fma_f64 v[110:111], v[40:41], s[18:19], -v[124:125]
	v_fma_f64 v[40:41], v[42:43], s[18:19], -v[126:127]
	;; [unrolled: 1-line block ×3, first 2 shown]
	v_add_f64 v[46:47], v[104:105], v[48:49]
	v_add_f64 v[104:105], v[106:107], v[128:129]
	v_fmac_f64_e32 v[40:41], s[0:1], v[38:39]
	v_fmac_f64_e32 v[54:55], s[8:9], v[58:59]
	;; [unrolled: 1-line block ×3, first 2 shown]
	v_add_f64 v[124:125], v[52:53], v[128:129]
	v_add_f64 v[42:43], v[50:51], v[128:129]
	;; [unrolled: 1-line block ×3, first 2 shown]
	v_fmac_f64_e32 v[44:45], s[0:1], v[38:39]
	v_fmac_f64_e32 v[110:111], s[0:1], v[36:37]
	v_add_f64 v[52:53], v[104:105], v[40:41]
	v_add_f64 v[40:41], v[104:105], -v[40:41]
	v_add_f64 v[104:105], v[68:69], v[84:85]
	v_add_f64 v[68:69], v[68:69], -v[84:85]
	v_add_f64 v[84:85], v[64:65], v[80:81]
	v_add_f64 v[126:127], v[54:55], v[48:49]
	v_add_f64 v[54:55], v[106:107], -v[110:111]
	v_add_f64 v[48:49], v[42:43], -v[44:45]
	v_add_f64 v[44:45], v[42:43], v[44:45]
	v_add_f64 v[42:43], v[110:111], v[106:107]
	;; [unrolled: 1-line block ×3, first 2 shown]
	v_add_f64 v[70:71], v[70:71], -v[86:87]
	v_add_f64 v[86:87], v[66:67], v[82:83]
	v_add_f64 v[64:65], v[64:65], -v[80:81]
	v_add_f64 v[80:81], v[72:73], v[76:77]
	;; [unrolled: 2-line block ×5, first 2 shown]
	v_add_f64 v[76:77], v[80:81], v[76:77]
	v_fmac_f64_e32 v[120:121], s[0:1], v[36:37]
	v_fmac_f64_e32 v[122:123], s[0:1], v[38:39]
	;; [unrolled: 1-line block ×3, first 2 shown]
	v_add_f64 v[78:79], v[82:83], v[78:79]
	v_add_f64 v[60:61], v[60:61], v[76:77]
	;; [unrolled: 1-line block ×3, first 2 shown]
	v_add_f64 v[58:59], v[126:127], -v[120:121]
	v_add_f64 v[50:51], v[108:109], v[46:47]
	v_add_f64 v[46:47], v[46:47], -v[108:109]
	v_add_f64 v[36:37], v[124:125], -v[122:123]
	v_add_f64 v[38:39], v[120:121], v[126:127]
	v_add_f64 v[108:109], v[84:85], -v[104:105]
	v_add_f64 v[110:111], v[86:87], -v[106:107]
	;; [unrolled: 1-line block ×6, first 2 shown]
	v_add_f64 v[120:121], v[72:73], v[64:65]
	v_add_f64 v[122:123], v[74:75], v[66:67]
	v_add_f64 v[124:125], v[72:73], -v[64:65]
	v_add_f64 v[126:127], v[74:75], -v[66:67]
	;; [unrolled: 1-line block ×4, first 2 shown]
	v_add_f64 v[62:63], v[62:63], v[78:79]
	v_mov_b64_e32 v[128:129], v[60:61]
	v_add_f64 v[72:73], v[68:69], -v[72:73]
	v_add_f64 v[74:75], v[70:71], -v[74:75]
	v_add_f64 v[68:69], v[120:121], v[68:69]
	v_add_f64 v[70:71], v[122:123], v[70:71]
	v_mul_f64 v[80:81], v[104:105], s[22:23]
	v_mul_f64 v[82:83], v[106:107], s[22:23]
	;; [unrolled: 1-line block ×8, first 2 shown]
	v_fmac_f64_e32 v[128:129], s[20:21], v[76:77]
	v_mov_b64_e32 v[76:77], v[62:63]
	v_fmac_f64_e32 v[76:77], s[20:21], v[78:79]
	v_fma_f64 v[78:79], v[108:109], s[12:13], -v[104:105]
	v_fma_f64 v[104:105], v[110:111], s[12:13], -v[106:107]
	;; [unrolled: 1-line block ×3, first 2 shown]
	v_fmac_f64_e32 v[80:81], s[8:9], v[84:85]
	v_fma_f64 v[84:85], v[110:111], s[14:15], -v[82:83]
	v_fma_f64 v[108:109], v[72:73], s[18:19], -v[124:125]
	v_fma_f64 v[110:111], v[74:75], s[18:19], -v[126:127]
	v_fmac_f64_e32 v[82:83], s[8:9], v[86:87]
	v_fma_f64 v[64:65], v[64:65], s[10:11], -v[120:121]
	v_fmac_f64_e32 v[120:121], s[16:17], v[72:73]
	v_fma_f64 v[66:67], v[66:67], s[10:11], -v[122:123]
	v_fmac_f64_e32 v[122:123], s[16:17], v[74:75]
	v_add_f64 v[74:75], v[104:105], v[76:77]
	v_add_f64 v[104:105], v[106:107], v[128:129]
	;; [unrolled: 1-line block ×3, first 2 shown]
	v_fmac_f64_e32 v[108:109], s[0:1], v[68:69]
	v_fmac_f64_e32 v[110:111], s[0:1], v[70:71]
	v_add_f64 v[124:125], v[80:81], v[128:129]
	v_add_f64 v[126:127], v[82:83], v[76:77]
	v_fmac_f64_e32 v[120:121], s[0:1], v[68:69]
	v_fmac_f64_e32 v[122:123], s[0:1], v[70:71]
	;; [unrolled: 1-line block ×4, first 2 shown]
	v_add_f64 v[80:81], v[104:105], v[110:111]
	v_add_f64 v[82:83], v[106:107], -v[108:109]
	v_add_f64 v[68:69], v[104:105], -v[110:111]
	v_add_f64 v[70:71], v[108:109], v[106:107]
	s_waitcnt lgkmcnt(7)
	v_add_f64 v[104:105], v[92:93], v[136:137]
	v_add_f64 v[108:109], v[100:101], v[116:117]
	;; [unrolled: 1-line block ×4, first 2 shown]
	v_add_f64 v[100:101], v[100:101], -v[116:117]
	v_add_f64 v[116:117], v[96:97], v[112:113]
	v_add_f64 v[96:97], v[112:113], -v[96:97]
	v_add_f64 v[112:113], v[108:109], v[104:105]
	v_add_f64 v[102:103], v[102:103], -v[118:119]
	v_add_f64 v[118:119], v[98:99], v[114:115]
	v_add_f64 v[98:99], v[114:115], -v[98:99]
	v_add_f64 v[114:115], v[110:111], v[106:107]
	v_add_f64 v[112:113], v[116:117], v[112:113]
	v_add_f64 v[72:73], v[78:79], v[128:129]
	;; [unrolled: 1-line block ×5, first 2 shown]
	v_add_f64 v[86:87], v[126:127], -v[120:121]
	v_add_f64 v[76:77], v[72:73], -v[66:67]
	v_add_f64 v[78:79], v[64:65], v[74:75]
	v_add_f64 v[72:73], v[72:73], v[66:67]
	v_add_f64 v[74:75], v[74:75], -v[64:65]
	v_add_f64 v[64:65], v[124:125], -v[122:123]
	v_add_f64 v[66:67], v[120:121], v[126:127]
	v_add_f64 v[92:93], v[92:93], -v[136:137]
	v_add_f64 v[94:95], v[94:95], -v[138:139]
	v_add_f64 v[120:121], v[108:109], -v[104:105]
	v_add_f64 v[122:123], v[110:111], -v[106:107]
	v_add_f64 v[104:105], v[104:105], -v[116:117]
	v_add_f64 v[106:107], v[106:107], -v[118:119]
	v_add_f64 v[108:109], v[116:117], -v[108:109]
	v_add_f64 v[110:111], v[118:119], -v[110:111]
	v_add_f64 v[124:125], v[96:97], v[100:101]
	v_add_f64 v[128:129], v[96:97], -v[100:101]
	v_add_f64 v[90:91], v[90:91], v[114:115]
	v_mov_b64_e32 v[132:133], v[88:89]
	v_add_f64 v[126:127], v[98:99], v[102:103]
	v_add_f64 v[130:131], v[98:99], -v[102:103]
	v_add_f64 v[96:97], v[92:93], -v[96:97]
	;; [unrolled: 1-line block ×4, first 2 shown]
	v_add_f64 v[92:93], v[124:125], v[92:93]
	v_mul_f64 v[104:105], v[104:105], s[22:23]
	v_mul_f64 v[106:107], v[106:107], s[22:23]
	;; [unrolled: 1-line block ×5, first 2 shown]
	v_fmac_f64_e32 v[132:133], s[20:21], v[112:113]
	v_mov_b64_e32 v[112:113], v[90:91]
	v_add_f64 v[98:99], v[94:95], -v[98:99]
	v_add_f64 v[94:95], v[126:127], v[94:95]
	v_mul_f64 v[126:127], v[130:131], s[24:25]
	v_mul_f64 v[128:129], v[100:101], s[10:11]
	;; [unrolled: 1-line block ×3, first 2 shown]
	v_fmac_f64_e32 v[112:113], s[20:21], v[114:115]
	v_fma_f64 v[114:115], v[120:121], s[12:13], -v[116:117]
	v_fma_f64 v[116:117], v[122:123], s[12:13], -v[118:119]
	;; [unrolled: 1-line block ×3, first 2 shown]
	v_fmac_f64_e32 v[104:105], s[8:9], v[108:109]
	v_fma_f64 v[108:109], v[122:123], s[14:15], -v[106:107]
	v_fmac_f64_e32 v[106:107], s[8:9], v[110:111]
	v_fma_f64 v[110:111], v[100:101], s[10:11], -v[124:125]
	;; [unrolled: 2-line block ×4, first 2 shown]
	v_fma_f64 v[96:97], v[98:99], s[18:19], -v[130:131]
	v_add_f64 v[106:107], v[106:107], v[112:113]
	v_fmac_f64_e32 v[124:125], s[0:1], v[92:93]
	v_add_f64 v[104:105], v[104:105], v[132:133]
	v_add_f64 v[98:99], v[114:115], v[132:133]
	;; [unrolled: 1-line block ×4, first 2 shown]
	v_fmac_f64_e32 v[126:127], s[0:1], v[94:95]
	v_fmac_f64_e32 v[110:111], s[0:1], v[92:93]
	;; [unrolled: 1-line block ×5, first 2 shown]
	v_add_f64 v[138:139], v[106:107], -v[124:125]
	v_add_f64 v[94:95], v[124:125], v[106:107]
	s_waitcnt lgkmcnt(0)
	v_add_f64 v[124:125], v[144:145], v[252:253]
	v_add_f64 v[128:129], v[148:149], v[212:213]
	;; [unrolled: 1-line block ×4, first 2 shown]
	v_add_f64 v[118:119], v[108:109], -v[120:121]
	v_add_f64 v[112:113], v[98:99], -v[100:101]
	v_add_f64 v[114:115], v[110:111], v[102:103]
	v_add_f64 v[100:101], v[98:99], v[100:101]
	v_add_f64 v[102:103], v[102:103], -v[110:111]
	v_add_f64 v[98:99], v[120:121], v[108:109]
	v_add_f64 v[92:93], v[104:105], -v[126:127]
	v_add_f64 v[126:127], v[146:147], v[254:255]
	v_add_f64 v[130:131], v[150:151], v[214:215]
	v_add_f64 v[120:121], v[148:149], -v[212:213]
	v_add_f64 v[110:111], v[172:173], v[192:193]
	v_add_f64 v[132:133], v[192:193], -v[172:173]
	v_add_f64 v[140:141], v[128:129], v[124:125]
	v_add_f64 v[116:117], v[122:123], v[96:97]
	v_add_f64 v[96:97], v[122:123], -v[96:97]
	v_add_f64 v[104:105], v[144:145], -v[252:253]
	v_add_f64 v[122:123], v[150:151], -v[214:215]
	v_add_f64 v[108:109], v[174:175], v[194:195]
	v_add_f64 v[134:135], v[194:195], -v[174:175]
	v_add_f64 v[142:143], v[130:131], v[126:127]
	v_add_f64 v[148:149], v[128:129], -v[124:125]
	v_add_f64 v[124:125], v[124:125], -v[110:111]
	;; [unrolled: 1-line block ×3, first 2 shown]
	v_add_f64 v[144:145], v[132:133], v[120:121]
	v_add_f64 v[110:111], v[110:111], v[140:141]
	v_add_f64 v[106:107], v[146:147], -v[254:255]
	v_add_f64 v[150:151], v[130:131], -v[126:127]
	;; [unrolled: 1-line block ×4, first 2 shown]
	v_add_f64 v[146:147], v[134:135], v[122:123]
	v_add_f64 v[152:153], v[132:133], -v[120:121]
	v_add_f64 v[132:133], v[104:105], -v[132:133]
	;; [unrolled: 1-line block ×3, first 2 shown]
	v_add_f64 v[108:109], v[108:109], v[142:143]
	v_add_f64 v[104:105], v[144:145], v[104:105]
	;; [unrolled: 1-line block ×3, first 2 shown]
	v_add_f64 v[154:155], v[134:135], -v[122:123]
	v_add_f64 v[134:135], v[106:107], -v[134:135]
	;; [unrolled: 1-line block ×3, first 2 shown]
	v_add_f64 v[106:107], v[146:147], v[106:107]
	v_add_f64 v[146:147], v[2:3], v[108:109]
	v_mov_b64_e32 v[156:157], v[144:145]
	v_mul_f64 v[2:3], v[124:125], s[22:23]
	v_mul_f64 v[0:1], v[154:155], s[24:25]
	v_fmac_f64_e32 v[156:157], s[20:21], v[110:111]
	v_mov_b64_e32 v[110:111], v[146:147]
	v_mul_f64 v[154:155], v[122:123], s[10:11]
	v_fmac_f64_e32 v[110:111], s[20:21], v[108:109]
	v_fma_f64 v[108:109], s[8:9], v[128:129], v[2:3]
	v_fma_f64 v[122:123], v[122:123], s[10:11], -v[0:1]
	v_fmac_f64_e32 v[0:1], s[16:17], v[134:135]
	v_add_f64 v[108:109], v[108:109], v[156:157]
	v_fmac_f64_e32 v[0:1], s[0:1], v[106:107]
	v_add_f64 v[172:173], v[108:109], v[0:1]
	v_add_f64 v[0:1], v[108:109], -v[0:1]
	s_waitcnt lgkmcnt(0)
	; wave barrier
	scratch_load_dword v108, off, off offset:108 ; 4-byte Folded Reload
	s_waitcnt vmcnt(0)
	ds_write_b128 v108, v[4:7]
	ds_write_b128 v108, v[28:31] offset:16
	ds_write_b128 v108, v[24:27] offset:32
	;; [unrolled: 1-line block ×6, first 2 shown]
	scratch_load_dword v4, off, off offset:88 ; 4-byte Folded Reload
	v_mul_f64 v[124:125], v[126:127], s[22:23]
	v_mul_f64 v[126:127], v[128:129], s[8:9]
	;; [unrolled: 1-line block ×5, first 2 shown]
	v_fma_f64 v[126:127], v[148:149], s[12:13], -v[126:127]
	v_fma_f64 v[128:129], v[150:151], s[12:13], -v[140:141]
	;; [unrolled: 1-line block ×4, first 2 shown]
	v_fmac_f64_e32 v[124:125], s[8:9], v[130:131]
	v_fma_f64 v[130:131], s[16:17], v[132:133], v[142:143]
	v_fma_f64 v[120:121], v[120:121], s[10:11], -v[142:143]
	v_fma_f64 v[132:133], v[132:133], s[18:19], -v[152:153]
	;; [unrolled: 1-line block ×3, first 2 shown]
	s_waitcnt vmcnt(0)
	ds_write_b128 v4, v[32:35]
	ds_write_b128 v4, v[56:59] offset:16
	ds_write_b128 v4, v[52:55] offset:32
	;; [unrolled: 1-line block ×6, first 2 shown]
	v_accvgpr_read_b32 v4, a255
	v_add_f64 v[124:125], v[124:125], v[110:111]
	v_add_f64 v[126:127], v[126:127], v[156:157]
	v_add_f64 v[128:129], v[128:129], v[110:111]
	v_add_f64 v[2:3], v[2:3], v[156:157]
	v_add_f64 v[110:111], v[140:141], v[110:111]
	v_fmac_f64_e32 v[130:131], s[0:1], v[104:105]
	v_fmac_f64_e32 v[120:121], s[0:1], v[104:105]
	;; [unrolled: 1-line block ×5, first 2 shown]
	ds_write_b128 v4, v[60:63]
	ds_write_b128 v4, v[84:87] offset:16
	ds_write_b128 v4, v[80:83] offset:32
	;; [unrolled: 1-line block ×6, first 2 shown]
	v_accvgpr_read_b32 v4, a209
	v_add_f64 v[174:175], v[124:125], -v[130:131]
	v_add_f64 v[148:149], v[2:3], v[134:135]
	v_add_f64 v[150:151], v[110:111], -v[132:133]
	v_add_f64 v[192:193], v[126:127], -v[122:123]
	v_add_f64 v[194:195], v[120:121], v[128:129]
	v_add_f64 v[212:213], v[126:127], v[122:123]
	v_add_f64 v[214:215], v[128:129], -v[120:121]
	ds_write_b128 v4, v[88:91]
	ds_write_b128 v4, v[136:139] offset:16
	ds_write_b128 v4, v[116:119] offset:32
	ds_write_b128 v4, v[112:115] offset:48
	ds_write_b128 v4, v[100:103] offset:64
	ds_write_b128 v4, v[96:99] offset:80
	ds_write_b128 v4, v[92:95] offset:96
	v_accvgpr_read_b32 v4, a25
	v_add_f64 v[104:105], v[2:3], -v[134:135]
	v_add_f64 v[106:107], v[132:133], v[110:111]
	v_add_f64 v[2:3], v[130:131], v[124:125]
	ds_write_b128 v4, v[144:147]
	ds_write_b128 v4, v[172:175] offset:16
	ds_write_b128 v4, v[148:151] offset:32
	;; [unrolled: 1-line block ×6, first 2 shown]
	s_waitcnt lgkmcnt(0)
	; wave barrier
	s_waitcnt lgkmcnt(0)
	ds_read_b128 v[12:15], v222
	ds_read_b128 v[252:255], v222 offset:560
	ds_read_b128 v[212:215], v222 offset:1120
	;; [unrolled: 1-line block ×33, first 2 shown]
	s_and_saveexec_b64 s[0:1], vcc
	s_cbranch_execz .LBB0_7
; %bb.6:
	ds_read_b128 v[0:3], v222 offset:544
	ds_read_b128 v[216:219], v208 offset:1104
	;; [unrolled: 1-line block ×17, first 2 shown]
.LBB0_7:
	s_or_b64 exec, exec, s[0:1]
	scratch_load_dwordx4 v[106:109], off, off offset:624 ; 16-byte Folded Reload
	s_mov_b32 s10, 0x5d8e7cdc
	s_mov_b32 s0, 0x370991
	;; [unrolled: 1-line block ×42, first 2 shown]
	v_add_u32_e32 v181, 0x220, v222
	v_add_u32_e32 v223, 0x330, v222
	;; [unrolled: 1-line block ×5, first 2 shown]
	s_waitcnt vmcnt(0) lgkmcnt(14)
	v_mul_f64 v[232:233], v[108:109], v[254:255]
	v_mul_f64 v[104:105], v[108:109], v[252:253]
	v_fmac_f64_e32 v[232:233], v[106:107], v[252:253]
	v_fma_f64 v[234:235], v[106:107], v[254:255], -v[104:105]
	scratch_load_dwordx4 v[106:109], off, off offset:608 ; 16-byte Folded Reload
	s_waitcnt vmcnt(0)
	v_mul_f64 v[176:177], v[108:109], v[214:215]
	v_mul_f64 v[104:105], v[108:109], v[212:213]
	v_fmac_f64_e32 v[176:177], v[106:107], v[212:213]
	v_fma_f64 v[178:179], v[106:107], v[214:215], -v[104:105]
	scratch_load_dwordx4 v[106:109], off, off offset:592 ; 16-byte Folded Reload
	s_waitcnt vmcnt(0)
	;; [unrolled: 6-line block ×3, first 2 shown]
	v_mul_f64 v[166:167], v[108:109], v[174:175]
	v_mul_f64 v[104:105], v[108:109], v[172:173]
	v_fmac_f64_e32 v[166:167], v[106:107], v[172:173]
	v_fma_f64 v[192:193], v[106:107], v[174:175], -v[104:105]
	scratch_load_dwordx4 v[106:109], off, off offset:640 ; 16-byte Folded Reload
	s_waitcnt lgkmcnt(0)
	; wave barrier
	s_waitcnt vmcnt(0) lgkmcnt(0)
	v_mul_f64 v[162:163], v[108:109], v[150:151]
	v_mul_f64 v[104:105], v[108:109], v[148:149]
	v_fmac_f64_e32 v[162:163], v[106:107], v[148:149]
	v_fma_f64 v[164:165], v[106:107], v[150:151], -v[104:105]
	v_accvgpr_read_b32 v106, a234
	v_accvgpr_read_b32 v108, a236
	v_accvgpr_read_b32 v109, a237
	v_accvgpr_read_b32 v107, a235
	v_mul_f64 v[156:157], v[108:109], v[146:147]
	v_mul_f64 v[104:105], v[108:109], v[144:145]
	v_fmac_f64_e32 v[156:157], v[106:107], v[144:145]
	v_fma_f64 v[158:159], v[106:107], v[146:147], -v[104:105]
	v_accvgpr_read_b32 v106, a230
	v_accvgpr_read_b32 v108, a232
	v_accvgpr_read_b32 v109, a233
	v_accvgpr_read_b32 v107, a231
	v_mul_f64 v[132:133], v[108:109], v[138:139]
	v_mul_f64 v[104:105], v[108:109], v[136:137]
	v_fmac_f64_e32 v[132:133], v[106:107], v[136:137]
	v_fma_f64 v[134:135], v[106:107], v[138:139], -v[104:105]
	v_accvgpr_read_b32 v106, a218
	v_accvgpr_read_b32 v108, a220
	v_accvgpr_read_b32 v109, a221
	v_accvgpr_read_b32 v107, a219
	v_mul_f64 v[124:125], v[108:109], v[118:119]
	v_mul_f64 v[104:105], v[108:109], v[116:117]
	v_fmac_f64_e32 v[124:125], v[106:107], v[116:117]
	v_fma_f64 v[126:127], v[106:107], v[118:119], -v[104:105]
	v_accvgpr_read_b32 v104, a148
	v_accvgpr_read_b32 v106, a150
	v_accvgpr_read_b32 v107, a151
	v_accvgpr_read_b32 v105, a149
	v_mul_f64 v[128:129], v[106:107], v[98:99]
	v_fmac_f64_e32 v[128:129], v[104:105], v[96:97]
	v_mul_f64 v[96:97], v[106:107], v[96:97]
	v_fma_f64 v[130:131], v[104:105], v[98:99], -v[96:97]
	v_accvgpr_read_b32 v96, a226
	v_accvgpr_read_b32 v98, a228
	v_accvgpr_read_b32 v99, a229
	v_accvgpr_read_b32 v97, a227
	v_mul_f64 v[152:153], v[98:99], v[86:87]
	v_fmac_f64_e32 v[152:153], v[96:97], v[84:85]
	v_mul_f64 v[84:85], v[98:99], v[84:85]
	v_fma_f64 v[154:155], v[96:97], v[86:87], -v[84:85]
	v_accvgpr_read_b32 v84, a250
	v_accvgpr_read_b32 v86, a252
	v_accvgpr_read_b32 v87, a253
	v_accvgpr_read_b32 v85, a251
	v_mul_f64 v[160:161], v[86:87], v[74:75]
	v_fmac_f64_e32 v[160:161], v[84:85], v[72:73]
	v_mul_f64 v[72:73], v[86:87], v[72:73]
	v_fma_f64 v[72:73], v[84:85], v[74:75], -v[72:73]
	v_accvgpr_read_b32 v84, a246
	v_accvgpr_read_b32 v86, a248
	v_accvgpr_read_b32 v87, a249
	v_accvgpr_read_b32 v85, a247
	v_mul_f64 v[74:75], v[86:87], v[62:63]
	v_fmac_f64_e32 v[74:75], v[84:85], v[60:61]
	v_mul_f64 v[60:61], v[86:87], v[60:61]
	v_fma_f64 v[60:61], v[84:85], v[62:63], -v[60:61]
	v_accvgpr_read_b32 v84, a164
	v_accvgpr_read_b32 v86, a166
	v_accvgpr_read_b32 v87, a167
	v_accvgpr_read_b32 v85, a165
	v_mul_f64 v[62:63], v[86:87], v[50:51]
	v_fmac_f64_e32 v[62:63], v[84:85], v[48:49]
	v_mul_f64 v[48:49], v[86:87], v[48:49]
	v_fma_f64 v[48:49], v[84:85], v[50:51], -v[48:49]
	v_accvgpr_read_b32 v84, a156
	v_accvgpr_read_b32 v86, a158
	v_accvgpr_read_b32 v87, a159
	v_accvgpr_read_b32 v85, a157
	v_mul_f64 v[50:51], v[86:87], v[38:39]
	v_fmac_f64_e32 v[50:51], v[84:85], v[36:37]
	v_mul_f64 v[36:37], v[86:87], v[36:37]
	v_fma_f64 v[36:37], v[84:85], v[38:39], -v[36:37]
	v_accvgpr_read_b32 v84, a152
	v_accvgpr_read_b32 v86, a154
	v_accvgpr_read_b32 v87, a155
	v_accvgpr_read_b32 v85, a153
	v_mul_f64 v[38:39], v[86:87], v[26:27]
	v_fmac_f64_e32 v[38:39], v[84:85], v[24:25]
	v_mul_f64 v[24:25], v[86:87], v[24:25]
	v_fma_f64 v[24:25], v[84:85], v[26:27], -v[24:25]
	v_accvgpr_read_b32 v84, a144
	v_accvgpr_read_b32 v86, a146
	v_accvgpr_read_b32 v87, a147
	v_accvgpr_read_b32 v85, a145
	v_mul_f64 v[26:27], v[86:87], v[10:11]
	v_fmac_f64_e32 v[26:27], v[84:85], v[8:9]
	v_mul_f64 v[8:9], v[86:87], v[8:9]
	v_fma_f64 v[194:195], v[84:85], v[10:11], -v[8:9]
	v_accvgpr_read_b32 v84, a176
	v_accvgpr_read_b32 v86, a178
	v_accvgpr_read_b32 v87, a179
	v_accvgpr_read_b32 v85, a177
	v_mul_f64 v[172:173], v[86:87], v[114:115]
	v_mul_f64 v[8:9], v[86:87], v[112:113]
	v_fmac_f64_e32 v[172:173], v[84:85], v[112:113]
	v_fma_f64 v[174:175], v[84:85], v[114:115], -v[8:9]
	v_accvgpr_read_b32 v84, a172
	v_accvgpr_read_b32 v86, a174
	v_accvgpr_read_b32 v87, a175
	v_accvgpr_read_b32 v85, a173
	v_mul_f64 v[144:145], v[86:87], v[102:103]
	v_mul_f64 v[8:9], v[86:87], v[100:101]
	v_fmac_f64_e32 v[144:145], v[84:85], v[100:101]
	v_fma_f64 v[146:147], v[84:85], v[102:103], -v[8:9]
	v_accvgpr_read_b32 v84, a168
	v_accvgpr_read_b32 v86, a170
	v_accvgpr_read_b32 v87, a171
	v_accvgpr_read_b32 v85, a169
	;; [unrolled: 8-line block ×15, first 2 shown]
	v_mul_f64 v[8:9], v[22:23], v[16:17]
	v_fma_f64 v[122:123], v[20:21], v[18:19], -v[8:9]
	v_add_f64 v[8:9], v[12:13], v[232:233]
	v_add_f64 v[10:11], v[14:15], v[234:235]
	;; [unrolled: 1-line block ×27, first 2 shown]
	v_mul_f64 v[120:121], v[22:23], v[18:19]
	v_add_f64 v[10:11], v[10:11], v[36:37]
	v_add_f64 v[8:9], v[8:9], v[38:39]
	;; [unrolled: 1-line block ×3, first 2 shown]
	v_add_f64 v[22:23], v[234:235], -v[194:195]
	v_fmac_f64_e32 v[120:121], v[20:21], v[16:17]
	v_add_f64 v[10:11], v[10:11], v[24:25]
	v_add_f64 v[8:9], v[8:9], v[26:27]
	;; [unrolled: 1-line block ×3, first 2 shown]
	v_add_f64 v[20:21], v[232:233], -v[26:27]
	v_mul_f64 v[26:27], v[22:23], s[10:11]
	v_mul_f64 v[30:31], v[18:19], s[0:1]
	;; [unrolled: 1-line block ×16, first 2 shown]
	v_add_f64 v[10:11], v[10:11], v[194:195]
	v_fma_f64 v[28:29], s[0:1], v[16:17], v[26:27]
	v_fma_f64 v[32:33], s[30:31], v[20:21], v[30:31]
	v_fma_f64 v[26:27], v[16:17], s[0:1], -v[26:27]
	v_fmac_f64_e32 v[30:31], s[10:11], v[20:21]
	v_fma_f64 v[40:41], s[8:9], v[16:17], v[34:35]
	v_fma_f64 v[44:45], s[46:47], v[20:21], v[42:43]
	v_fma_f64 v[34:35], v[16:17], s[8:9], -v[34:35]
	v_fmac_f64_e32 v[42:43], s[14:15], v[20:21]
	;; [unrolled: 4-line block ×8, first 2 shown]
	v_add_f64 v[22:23], v[178:179], -v[24:25]
	v_add_f64 v[28:29], v[12:13], v[28:29]
	v_add_f64 v[32:33], v[14:15], v[32:33]
	;; [unrolled: 1-line block ×34, first 2 shown]
	v_mul_f64 v[24:25], v[22:23], s[14:15]
	v_add_f64 v[20:21], v[176:177], -v[38:39]
	v_fma_f64 v[38:39], s[8:9], v[16:17], v[24:25]
	v_add_f64 v[28:29], v[38:39], v[28:29]
	v_mul_f64 v[38:39], v[18:19], s[8:9]
	v_fma_f64 v[176:177], s[46:47], v[20:21], v[38:39]
	v_fma_f64 v[24:25], v[16:17], s[8:9], -v[24:25]
	v_fmac_f64_e32 v[38:39], s[14:15], v[20:21]
	v_add_f64 v[24:25], v[24:25], v[26:27]
	v_add_f64 v[26:27], v[38:39], v[30:31]
	v_mul_f64 v[30:31], v[22:23], s[22:23]
	v_fma_f64 v[38:39], s[16:17], v[16:17], v[30:31]
	v_add_f64 v[38:39], v[38:39], v[40:41]
	v_mul_f64 v[40:41], v[18:19], s[16:17]
	v_add_f64 v[32:33], v[176:177], v[32:33]
	v_fma_f64 v[176:177], s[54:55], v[20:21], v[40:41]
	v_fma_f64 v[30:31], v[16:17], s[16:17], -v[30:31]
	v_fmac_f64_e32 v[40:41], s[22:23], v[20:21]
	v_add_f64 v[30:31], v[30:31], v[34:35]
	v_add_f64 v[34:35], v[40:41], v[42:43]
	v_mul_f64 v[40:41], v[22:23], s[34:35]
	v_fma_f64 v[42:43], s[24:25], v[16:17], v[40:41]
	v_add_f64 v[42:43], v[42:43], v[52:53]
	v_mul_f64 v[52:53], v[18:19], s[24:25]
	v_add_f64 v[44:45], v[176:177], v[44:45]
	;; [unrolled: 10-line block ×4, first 2 shown]
	v_fma_f64 v[176:177], s[38:39], v[20:21], v[76:77]
	v_fma_f64 v[64:65], v[16:17], s[28:29], -v[64:65]
	v_fmac_f64_e32 v[76:77], s[48:49], v[20:21]
	v_mul_f64 v[178:179], v[18:19], s[20:21]
	v_add_f64 v[176:177], v[176:177], v[194:195]
	v_add_f64 v[64:65], v[64:65], v[70:71]
	;; [unrolled: 1-line block ×3, first 2 shown]
	v_mul_f64 v[76:77], v[22:23], s[44:45]
	v_fma_f64 v[194:195], s[26:27], v[20:21], v[178:179]
	v_fmac_f64_e32 v[178:179], s[44:45], v[20:21]
	v_fma_f64 v[78:79], s[20:21], v[16:17], v[76:77]
	v_fma_f64 v[76:77], v[16:17], s[20:21], -v[76:77]
	v_add_f64 v[178:179], v[178:179], v[232:233]
	v_mul_f64 v[232:233], v[18:19], s[12:13]
	v_add_f64 v[194:195], v[194:195], v[234:235]
	v_add_f64 v[76:77], v[76:77], v[212:213]
	v_mul_f64 v[212:213], v[22:23], s[40:41]
	v_fma_f64 v[234:235], s[18:19], v[20:21], v[232:233]
	v_fmac_f64_e32 v[232:233], s[40:41], v[20:21]
	v_mul_f64 v[22:23], v[22:23], s[30:31]
	v_add_f64 v[182:183], v[232:233], v[182:183]
	v_fma_f64 v[232:233], s[0:1], v[16:17], v[22:23]
	v_mul_f64 v[18:19], v[18:19], s[0:1]
	v_add_f64 v[78:79], v[78:79], v[214:215]
	v_fma_f64 v[214:215], s[12:13], v[16:17], v[212:213]
	v_fma_f64 v[212:213], v[16:17], s[12:13], -v[212:213]
	v_add_f64 v[196:197], v[232:233], v[196:197]
	v_fma_f64 v[232:233], s[10:11], v[20:21], v[18:19]
	v_fma_f64 v[16:17], v[16:17], s[0:1], -v[22:23]
	v_fmac_f64_e32 v[18:19], s[30:31], v[20:21]
	v_add_f64 v[22:23], v[170:171], -v[36:37]
	v_add_f64 v[12:13], v[16:17], v[12:13]
	v_add_f64 v[14:15], v[18:19], v[14:15]
	;; [unrolled: 1-line block ×4, first 2 shown]
	v_mul_f64 v[36:37], v[22:23], s[18:19]
	v_add_f64 v[20:21], v[168:169], -v[50:51]
	v_fma_f64 v[50:51], s[12:13], v[16:17], v[36:37]
	v_add_f64 v[28:29], v[50:51], v[28:29]
	v_mul_f64 v[50:51], v[18:19], s[12:13]
	v_fma_f64 v[36:37], v[16:17], s[12:13], -v[36:37]
	v_fma_f64 v[168:169], s[40:41], v[20:21], v[50:51]
	v_add_f64 v[24:25], v[36:37], v[24:25]
	v_fmac_f64_e32 v[50:51], s[18:19], v[20:21]
	v_mul_f64 v[36:37], v[22:23], s[34:35]
	v_add_f64 v[26:27], v[50:51], v[26:27]
	v_fma_f64 v[50:51], s[24:25], v[16:17], v[36:37]
	v_add_f64 v[38:39], v[50:51], v[38:39]
	v_mul_f64 v[50:51], v[18:19], s[24:25]
	v_fma_f64 v[36:37], v[16:17], s[24:25], -v[36:37]
	v_add_f64 v[32:33], v[168:169], v[32:33]
	v_fma_f64 v[168:169], s[52:53], v[20:21], v[50:51]
	v_add_f64 v[30:31], v[36:37], v[30:31]
	v_fmac_f64_e32 v[50:51], s[34:35], v[20:21]
	v_mul_f64 v[36:37], v[22:23], s[50:51]
	v_add_f64 v[34:35], v[50:51], v[34:35]
	v_fma_f64 v[50:51], s[36:37], v[16:17], v[36:37]
	v_add_f64 v[42:43], v[50:51], v[42:43]
	v_mul_f64 v[50:51], v[18:19], s[36:37]
	v_add_f64 v[44:45], v[168:169], v[44:45]
	v_fma_f64 v[168:169], s[42:43], v[20:21], v[50:51]
	v_fma_f64 v[36:37], v[16:17], s[36:37], -v[36:37]
	v_fmac_f64_e32 v[50:51], s[50:51], v[20:21]
	v_add_f64 v[36:37], v[36:37], v[40:41]
	v_add_f64 v[40:41], v[50:51], v[46:47]
	v_mul_f64 v[46:47], v[22:23], s[44:45]
	v_fma_f64 v[50:51], s[20:21], v[16:17], v[46:47]
	v_add_f64 v[50:51], v[50:51], v[54:55]
	v_mul_f64 v[54:55], v[18:19], s[20:21]
	v_add_f64 v[56:57], v[168:169], v[56:57]
	v_fma_f64 v[168:169], s[26:27], v[20:21], v[54:55]
	v_fma_f64 v[46:47], v[16:17], s[20:21], -v[46:47]
	v_fmac_f64_e32 v[54:55], s[44:45], v[20:21]
	v_add_f64 v[46:47], v[46:47], v[52:53]
	v_add_f64 v[52:53], v[54:55], v[58:59]
	v_mul_f64 v[54:55], v[22:23], s[46:47]
	;; [unrolled: 10-line block ×3, first 2 shown]
	v_fma_f64 v[70:71], s[0:1], v[16:17], v[66:67]
	v_add_f64 v[70:71], v[70:71], v[78:79]
	v_mul_f64 v[78:79], v[18:19], s[0:1]
	v_fma_f64 v[170:171], s[30:31], v[20:21], v[78:79]
	v_fma_f64 v[66:67], v[16:17], s[0:1], -v[66:67]
	v_fmac_f64_e32 v[78:79], s[10:11], v[20:21]
	v_add_f64 v[66:67], v[66:67], v[76:77]
	v_add_f64 v[76:77], v[78:79], v[178:179]
	v_mul_f64 v[178:179], v[18:19], s[16:17]
	v_add_f64 v[184:185], v[234:235], v[184:185]
	v_add_f64 v[170:171], v[170:171], v[194:195]
	v_mul_f64 v[78:79], v[22:23], s[22:23]
	v_fma_f64 v[194:195], s[54:55], v[20:21], v[178:179]
	v_fmac_f64_e32 v[178:179], s[22:23], v[20:21]
	v_mul_f64 v[22:23], v[22:23], s[38:39]
	v_mul_f64 v[18:19], v[18:19], s[28:29]
	v_add_f64 v[168:169], v[168:169], v[176:177]
	v_fma_f64 v[176:177], s[16:17], v[16:17], v[78:79]
	v_add_f64 v[184:185], v[194:195], v[184:185]
	v_fma_f64 v[78:79], v[16:17], s[16:17], -v[78:79]
	v_add_f64 v[178:179], v[178:179], v[182:183]
	v_fma_f64 v[182:183], s[28:29], v[16:17], v[22:23]
	v_fma_f64 v[194:195], s[48:49], v[20:21], v[18:19]
	v_fma_f64 v[16:17], v[16:17], s[28:29], -v[22:23]
	v_fmac_f64_e32 v[18:19], s[38:39], v[20:21]
	v_add_f64 v[22:23], v[192:193], -v[48:49]
	v_add_f64 v[12:13], v[16:17], v[12:13]
	v_add_f64 v[14:15], v[18:19], v[14:15]
	;; [unrolled: 1-line block ×4, first 2 shown]
	v_mul_f64 v[48:49], v[22:23], s[22:23]
	v_add_f64 v[20:21], v[166:167], -v[62:63]
	v_fma_f64 v[62:63], s[16:17], v[16:17], v[48:49]
	v_add_f64 v[28:29], v[62:63], v[28:29]
	v_mul_f64 v[62:63], v[18:19], s[16:17]
	v_fma_f64 v[48:49], v[16:17], s[16:17], -v[48:49]
	v_fma_f64 v[166:167], s[54:55], v[20:21], v[62:63]
	v_add_f64 v[24:25], v[48:49], v[24:25]
	v_fmac_f64_e32 v[62:63], s[22:23], v[20:21]
	v_mul_f64 v[48:49], v[22:23], s[42:43]
	v_add_f64 v[26:27], v[62:63], v[26:27]
	v_fma_f64 v[62:63], s[36:37], v[16:17], v[48:49]
	v_add_f64 v[38:39], v[62:63], v[38:39]
	v_mul_f64 v[62:63], v[18:19], s[36:37]
	v_fma_f64 v[48:49], v[16:17], s[36:37], -v[48:49]
	v_add_f64 v[32:33], v[166:167], v[32:33]
	v_fma_f64 v[166:167], s[50:51], v[20:21], v[62:63]
	v_add_f64 v[30:31], v[48:49], v[30:31]
	v_fmac_f64_e32 v[62:63], s[42:43], v[20:21]
	v_mul_f64 v[48:49], v[22:23], s[44:45]
	v_add_f64 v[34:35], v[62:63], v[34:35]
	v_fma_f64 v[62:63], s[20:21], v[16:17], v[48:49]
	v_add_f64 v[42:43], v[62:63], v[42:43]
	v_mul_f64 v[62:63], v[18:19], s[20:21]
	v_fma_f64 v[48:49], v[16:17], s[20:21], -v[48:49]
	v_add_f64 v[44:45], v[166:167], v[44:45]
	v_fma_f64 v[166:167], s[26:27], v[20:21], v[62:63]
	v_add_f64 v[36:37], v[48:49], v[36:37]
	v_fmac_f64_e32 v[62:63], s[44:45], v[20:21]
	v_mul_f64 v[48:49], v[22:23], s[30:31]
	v_add_f64 v[40:41], v[62:63], v[40:41]
	v_fma_f64 v[62:63], s[0:1], v[16:17], v[48:49]
	v_add_f64 v[50:51], v[62:63], v[50:51]
	v_mul_f64 v[62:63], v[18:19], s[0:1]
	v_add_f64 v[56:57], v[166:167], v[56:57]
	v_fma_f64 v[166:167], s[10:11], v[20:21], v[62:63]
	v_fma_f64 v[48:49], v[16:17], s[0:1], -v[48:49]
	v_fmac_f64_e32 v[62:63], s[30:31], v[20:21]
	v_add_f64 v[46:47], v[48:49], v[46:47]
	v_add_f64 v[48:49], v[62:63], v[52:53]
	v_mul_f64 v[52:53], v[22:23], s[18:19]
	v_fma_f64 v[62:63], s[12:13], v[16:17], v[52:53]
	v_add_f64 v[58:59], v[62:63], v[58:59]
	v_mul_f64 v[62:63], v[18:19], s[12:13]
	v_add_f64 v[68:69], v[166:167], v[68:69]
	v_fma_f64 v[166:167], s[40:41], v[20:21], v[62:63]
	v_fma_f64 v[52:53], v[16:17], s[12:13], -v[52:53]
	v_fmac_f64_e32 v[62:63], s[18:19], v[20:21]
	v_add_f64 v[52:53], v[52:53], v[54:55]
	v_add_f64 v[54:55], v[62:63], v[64:65]
	v_mul_f64 v[62:63], v[22:23], s[38:39]
	v_fma_f64 v[64:65], s[28:29], v[16:17], v[62:63]
	v_add_f64 v[64:65], v[64:65], v[70:71]
	v_mul_f64 v[70:71], v[18:19], s[28:29]
	v_add_f64 v[166:167], v[166:167], v[168:169]
	v_fma_f64 v[168:169], s[48:49], v[20:21], v[70:71]
	v_fma_f64 v[62:63], v[16:17], s[28:29], -v[62:63]
	v_fmac_f64_e32 v[70:71], s[38:39], v[20:21]
	v_add_f64 v[214:215], v[214:215], v[254:255]
	v_add_f64 v[62:63], v[62:63], v[66:67]
	;; [unrolled: 1-line block ×3, first 2 shown]
	v_mul_f64 v[70:71], v[22:23], s[52:53]
	v_add_f64 v[212:213], v[212:213], v[252:253]
	v_add_f64 v[176:177], v[176:177], v[214:215]
	;; [unrolled: 1-line block ×3, first 2 shown]
	v_fma_f64 v[76:77], s[24:25], v[16:17], v[70:71]
	v_mul_f64 v[170:171], v[18:19], s[24:25]
	v_add_f64 v[78:79], v[78:79], v[212:213]
	v_add_f64 v[76:77], v[76:77], v[176:177]
	v_fma_f64 v[176:177], s[34:35], v[20:21], v[170:171]
	v_fma_f64 v[70:71], v[16:17], s[24:25], -v[70:71]
	v_fmac_f64_e32 v[170:171], s[52:53], v[20:21]
	v_mul_f64 v[22:23], v[22:23], s[46:47]
	v_mul_f64 v[18:19], v[18:19], s[8:9]
	v_add_f64 v[70:71], v[70:71], v[78:79]
	v_add_f64 v[78:79], v[170:171], v[178:179]
	v_fma_f64 v[170:171], s[8:9], v[16:17], v[22:23]
	v_fma_f64 v[178:179], s[14:15], v[20:21], v[18:19]
	v_fma_f64 v[16:17], v[16:17], s[8:9], -v[22:23]
	v_fmac_f64_e32 v[18:19], s[46:47], v[20:21]
	v_add_f64 v[22:23], v[164:165], -v[60:61]
	v_add_f64 v[12:13], v[16:17], v[12:13]
	v_add_f64 v[14:15], v[18:19], v[14:15]
	;; [unrolled: 1-line block ×4, first 2 shown]
	v_mul_f64 v[60:61], v[22:23], s[26:27]
	v_add_f64 v[20:21], v[162:163], -v[74:75]
	v_fma_f64 v[74:75], s[20:21], v[16:17], v[60:61]
	v_add_f64 v[28:29], v[74:75], v[28:29]
	v_mul_f64 v[74:75], v[18:19], s[20:21]
	v_fma_f64 v[60:61], v[16:17], s[20:21], -v[60:61]
	v_fma_f64 v[162:163], s[44:45], v[20:21], v[74:75]
	v_add_f64 v[24:25], v[60:61], v[24:25]
	v_fmac_f64_e32 v[74:75], s[26:27], v[20:21]
	v_mul_f64 v[60:61], v[22:23], s[48:49]
	v_add_f64 v[26:27], v[74:75], v[26:27]
	v_fma_f64 v[74:75], s[28:29], v[16:17], v[60:61]
	v_add_f64 v[38:39], v[74:75], v[38:39]
	v_mul_f64 v[74:75], v[18:19], s[28:29]
	v_fma_f64 v[60:61], v[16:17], s[28:29], -v[60:61]
	v_add_f64 v[32:33], v[162:163], v[32:33]
	v_fma_f64 v[162:163], s[38:39], v[20:21], v[74:75]
	v_add_f64 v[30:31], v[60:61], v[30:31]
	v_fmac_f64_e32 v[74:75], s[48:49], v[20:21]
	v_mul_f64 v[60:61], v[22:23], s[46:47]
	v_add_f64 v[34:35], v[74:75], v[34:35]
	v_fma_f64 v[74:75], s[8:9], v[16:17], v[60:61]
	v_add_f64 v[42:43], v[74:75], v[42:43]
	v_mul_f64 v[74:75], v[18:19], s[8:9]
	v_fma_f64 v[60:61], v[16:17], s[8:9], -v[60:61]
	v_add_f64 v[44:45], v[162:163], v[44:45]
	;; [unrolled: 10-line block ×4, first 2 shown]
	v_fma_f64 v[162:163], s[50:51], v[20:21], v[74:75]
	v_add_f64 v[52:53], v[60:61], v[52:53]
	v_fmac_f64_e32 v[74:75], s[42:43], v[20:21]
	v_mul_f64 v[60:61], v[22:23], s[54:55]
	v_add_f64 v[54:55], v[74:75], v[54:55]
	v_fma_f64 v[74:75], s[16:17], v[16:17], v[60:61]
	v_add_f64 v[64:65], v[74:75], v[64:65]
	v_mul_f64 v[74:75], v[18:19], s[16:17]
	v_fma_f64 v[164:165], s[22:23], v[20:21], v[74:75]
	v_fma_f64 v[60:61], v[16:17], s[16:17], -v[60:61]
	v_fmac_f64_e32 v[74:75], s[54:55], v[20:21]
	v_add_f64 v[60:61], v[60:61], v[62:63]
	v_add_f64 v[62:63], v[74:75], v[66:67]
	v_mul_f64 v[66:67], v[22:23], s[10:11]
	v_fma_f64 v[74:75], s[0:1], v[16:17], v[66:67]
	v_add_f64 v[74:75], v[74:75], v[76:77]
	v_mul_f64 v[76:77], v[18:19], s[0:1]
	v_add_f64 v[162:163], v[162:163], v[166:167]
	v_fma_f64 v[166:167], s[30:31], v[20:21], v[76:77]
	v_fma_f64 v[66:67], v[16:17], s[0:1], -v[66:67]
	v_fmac_f64_e32 v[76:77], s[10:11], v[20:21]
	v_mul_f64 v[22:23], v[22:23], s[34:35]
	v_mul_f64 v[18:19], v[18:19], s[24:25]
	v_add_f64 v[66:67], v[66:67], v[70:71]
	v_add_f64 v[70:71], v[76:77], v[78:79]
	v_fma_f64 v[76:77], s[24:25], v[16:17], v[22:23]
	v_fma_f64 v[78:79], s[52:53], v[20:21], v[18:19]
	v_fma_f64 v[16:17], v[16:17], s[24:25], -v[22:23]
	v_fmac_f64_e32 v[18:19], s[34:35], v[20:21]
	v_add_f64 v[22:23], v[158:159], -v[72:73]
	v_add_f64 v[12:13], v[16:17], v[12:13]
	v_add_f64 v[14:15], v[18:19], v[14:15]
	v_add_f64 v[16:17], v[156:157], v[160:161]
	v_add_f64 v[18:19], v[158:159], v[72:73]
	v_mul_f64 v[72:73], v[22:23], s[34:35]
	v_add_f64 v[20:21], v[156:157], -v[160:161]
	v_fma_f64 v[156:157], s[24:25], v[16:17], v[72:73]
	v_add_f64 v[28:29], v[156:157], v[28:29]
	v_mul_f64 v[156:157], v[18:19], s[24:25]
	v_fma_f64 v[72:73], v[16:17], s[24:25], -v[72:73]
	v_fma_f64 v[158:159], s[52:53], v[20:21], v[156:157]
	v_add_f64 v[24:25], v[72:73], v[24:25]
	v_fmac_f64_e32 v[156:157], s[34:35], v[20:21]
	v_mul_f64 v[72:73], v[22:23], s[44:45]
	v_add_f64 v[26:27], v[156:157], v[26:27]
	v_fma_f64 v[156:157], s[20:21], v[16:17], v[72:73]
	v_add_f64 v[38:39], v[156:157], v[38:39]
	v_mul_f64 v[156:157], v[18:19], s[20:21]
	v_fma_f64 v[72:73], v[16:17], s[20:21], -v[72:73]
	v_add_f64 v[32:33], v[158:159], v[32:33]
	v_fma_f64 v[158:159], s[26:27], v[20:21], v[156:157]
	v_add_f64 v[30:31], v[72:73], v[30:31]
	v_fmac_f64_e32 v[156:157], s[44:45], v[20:21]
	v_mul_f64 v[72:73], v[22:23], s[10:11]
	v_add_f64 v[34:35], v[156:157], v[34:35]
	v_fma_f64 v[156:157], s[0:1], v[16:17], v[72:73]
	v_add_f64 v[42:43], v[156:157], v[42:43]
	v_mul_f64 v[156:157], v[18:19], s[0:1]
	v_fma_f64 v[72:73], v[16:17], s[0:1], -v[72:73]
	v_add_f64 v[44:45], v[158:159], v[44:45]
	;; [unrolled: 10-line block ×5, first 2 shown]
	v_add_f64 v[182:183], v[182:183], v[196:197]
	v_fma_f64 v[160:161], s[46:47], v[20:21], v[156:157]
	v_add_f64 v[60:61], v[72:73], v[60:61]
	v_fmac_f64_e32 v[156:157], s[14:15], v[20:21]
	v_mul_f64 v[72:73], v[22:23], s[42:43]
	v_add_f64 v[194:195], v[194:195], v[198:199]
	v_add_f64 v[170:171], v[170:171], v[182:183]
	;; [unrolled: 1-line block ×3, first 2 shown]
	v_fma_f64 v[156:157], s[36:37], v[16:17], v[72:73]
	v_fma_f64 v[72:73], v[16:17], s[36:37], -v[72:73]
	v_mul_f64 v[22:23], v[22:23], s[40:41]
	v_add_f64 v[178:179], v[178:179], v[194:195]
	v_add_f64 v[76:77], v[76:77], v[170:171]
	;; [unrolled: 1-line block ×3, first 2 shown]
	v_mul_f64 v[156:157], v[18:19], s[36:37]
	v_add_f64 v[66:67], v[72:73], v[66:67]
	v_fma_f64 v[72:73], s[12:13], v[16:17], v[22:23]
	v_mul_f64 v[18:19], v[18:19], s[12:13]
	v_add_f64 v[78:79], v[78:79], v[178:179]
	v_add_f64 v[72:73], v[72:73], v[76:77]
	v_fma_f64 v[76:77], s[18:19], v[20:21], v[18:19]
	v_fma_f64 v[16:17], v[16:17], s[12:13], -v[22:23]
	v_add_f64 v[22:23], v[134:135], -v[154:155]
	v_add_f64 v[76:77], v[76:77], v[78:79]
	v_add_f64 v[12:13], v[16:17], v[12:13]
	v_fmac_f64_e32 v[18:19], s[40:41], v[20:21]
	v_add_f64 v[16:17], v[132:133], v[152:153]
	v_mul_f64 v[78:79], v[22:23], s[38:39]
	v_add_f64 v[158:159], v[158:159], v[162:163]
	v_fma_f64 v[162:163], s[50:51], v[20:21], v[156:157]
	v_fmac_f64_e32 v[156:157], s[42:43], v[20:21]
	v_add_f64 v[14:15], v[18:19], v[14:15]
	v_add_f64 v[18:19], v[134:135], v[154:155]
	v_add_f64 v[20:21], v[132:133], -v[152:153]
	v_fma_f64 v[132:133], s[28:29], v[16:17], v[78:79]
	v_add_f64 v[28:29], v[132:133], v[28:29]
	v_mul_f64 v[132:133], v[18:19], s[28:29]
	v_fma_f64 v[78:79], v[16:17], s[28:29], -v[78:79]
	v_fma_f64 v[134:135], s[48:49], v[20:21], v[132:133]
	v_add_f64 v[78:79], v[78:79], v[24:25]
	v_fmac_f64_e32 v[132:133], s[38:39], v[20:21]
	v_mul_f64 v[24:25], v[22:23], s[40:41]
	v_add_f64 v[132:133], v[132:133], v[26:27]
	v_fma_f64 v[26:27], s[12:13], v[16:17], v[24:25]
	v_add_f64 v[38:39], v[26:27], v[38:39]
	v_mul_f64 v[26:27], v[18:19], s[12:13]
	v_fma_f64 v[24:25], v[16:17], s[12:13], -v[24:25]
	v_add_f64 v[32:33], v[134:135], v[32:33]
	v_fma_f64 v[134:135], s[18:19], v[20:21], v[26:27]
	v_add_f64 v[30:31], v[24:25], v[30:31]
	v_fmac_f64_e32 v[26:27], s[40:41], v[20:21]
	v_mul_f64 v[24:25], v[22:23], s[22:23]
	v_add_f64 v[44:45], v[134:135], v[44:45]
	v_add_f64 v[134:135], v[26:27], v[34:35]
	v_fma_f64 v[26:27], s[16:17], v[16:17], v[24:25]
	v_add_f64 v[42:43], v[26:27], v[42:43]
	v_mul_f64 v[26:27], v[18:19], s[16:17]
	v_fma_f64 v[24:25], v[16:17], s[16:17], -v[24:25]
	v_fma_f64 v[34:35], s[54:55], v[20:21], v[26:27]
	v_add_f64 v[152:153], v[24:25], v[36:37]
	v_fmac_f64_e32 v[26:27], s[22:23], v[20:21]
	v_mul_f64 v[24:25], v[22:23], s[52:53]
	v_add_f64 v[40:41], v[26:27], v[40:41]
	v_fma_f64 v[26:27], s[24:25], v[16:17], v[24:25]
	v_add_f64 v[50:51], v[26:27], v[50:51]
	v_mul_f64 v[26:27], v[18:19], s[24:25]
	v_fma_f64 v[24:25], v[16:17], s[24:25], -v[24:25]
	v_add_f64 v[56:57], v[34:35], v[56:57]
	v_fma_f64 v[34:35], s[34:35], v[20:21], v[26:27]
	v_add_f64 v[154:155], v[24:25], v[46:47]
	v_fmac_f64_e32 v[26:27], s[52:53], v[20:21]
	v_mul_f64 v[24:25], v[22:23], s[10:11]
	v_add_f64 v[48:49], v[26:27], v[48:49]
	v_fma_f64 v[26:27], s[0:1], v[16:17], v[24:25]
	v_add_f64 v[58:59], v[26:27], v[58:59]
	v_mul_f64 v[26:27], v[18:19], s[0:1]
	v_add_f64 v[68:69], v[34:35], v[68:69]
	v_fma_f64 v[34:35], s[30:31], v[20:21], v[26:27]
	v_fma_f64 v[24:25], v[16:17], s[0:1], -v[24:25]
	v_add_f64 v[164:165], v[164:165], v[168:169]
	v_add_f64 v[70:71], v[156:157], v[70:71]
	;; [unrolled: 1-line block ×4, first 2 shown]
	v_fmac_f64_e32 v[26:27], s[10:11], v[20:21]
	v_mul_f64 v[24:25], v[22:23], s[42:43]
	v_add_f64 v[160:161], v[160:161], v[164:165]
	v_add_f64 v[164:165], v[26:27], v[54:55]
	v_fma_f64 v[26:27], s[36:37], v[16:17], v[24:25]
	v_add_f64 v[64:65], v[26:27], v[64:65]
	v_mul_f64 v[26:27], v[18:19], s[36:37]
	v_fma_f64 v[24:25], v[16:17], s[36:37], -v[24:25]
	v_add_f64 v[176:177], v[176:177], v[184:185]
	v_fma_f64 v[34:35], s[50:51], v[20:21], v[26:27]
	v_add_f64 v[60:61], v[24:25], v[60:61]
	v_fmac_f64_e32 v[26:27], s[42:43], v[20:21]
	v_mul_f64 v[24:25], v[22:23], s[46:47]
	v_add_f64 v[166:167], v[166:167], v[176:177]
	v_add_f64 v[62:63], v[26:27], v[62:63]
	v_fma_f64 v[26:27], s[8:9], v[16:17], v[24:25]
	v_fma_f64 v[24:25], v[16:17], s[8:9], -v[24:25]
	v_mul_f64 v[22:23], v[22:23], s[26:27]
	v_add_f64 v[162:163], v[162:163], v[166:167]
	v_add_f64 v[74:75], v[26:27], v[74:75]
	v_mul_f64 v[26:27], v[18:19], s[8:9]
	v_add_f64 v[166:167], v[24:25], v[66:67]
	v_fma_f64 v[24:25], s[20:21], v[16:17], v[22:23]
	v_mul_f64 v[18:19], v[18:19], s[20:21]
	v_fma_f64 v[16:17], v[16:17], s[20:21], -v[22:23]
	v_add_f64 v[178:179], v[126:127], v[130:131]
	v_add_f64 v[126:127], v[126:127], -v[130:131]
	v_add_f64 v[72:73], v[24:25], v[72:73]
	v_fma_f64 v[24:25], s[44:45], v[20:21], v[18:19]
	v_add_f64 v[168:169], v[16:17], v[12:13]
	v_fmac_f64_e32 v[18:19], s[26:27], v[20:21]
	v_add_f64 v[176:177], v[124:125], v[128:129]
	v_mul_f64 v[12:13], v[126:127], s[42:43]
	v_add_f64 v[170:171], v[18:19], v[14:15]
	v_fma_f64 v[14:15], s[36:37], v[176:177], v[12:13]
	v_add_f64 v[76:77], v[24:25], v[76:77]
	v_add_f64 v[124:125], v[124:125], -v[128:129]
	v_add_f64 v[24:25], v[14:15], v[28:29]
	v_mul_f64 v[14:15], v[178:179], s[36:37]
	v_add_f64 v[160:161], v[34:35], v[160:161]
	v_fma_f64 v[34:35], s[14:15], v[20:21], v[26:27]
	v_fmac_f64_e32 v[26:27], s[46:47], v[20:21]
	v_fma_f64 v[16:17], s[50:51], v[124:125], v[14:15]
	v_add_f64 v[70:71], v[26:27], v[70:71]
	v_add_f64 v[26:27], v[16:17], v[32:33]
	v_mul_f64 v[16:17], v[126:127], s[30:31]
	v_fma_f64 v[18:19], s[0:1], v[176:177], v[16:17]
	v_add_f64 v[32:33], v[18:19], v[38:39]
	v_mul_f64 v[18:19], v[178:179], s[0:1]
	v_fma_f64 v[20:21], s[10:11], v[124:125], v[18:19]
	v_add_f64 v[162:163], v[34:35], v[162:163]
	v_add_f64 v[34:35], v[20:21], v[44:45]
	v_mul_f64 v[20:21], v[126:127], s[38:39]
	v_fma_f64 v[22:23], s[28:29], v[176:177], v[20:21]
	v_add_f64 v[36:37], v[22:23], v[42:43]
	v_mul_f64 v[22:23], v[178:179], s[28:29]
	v_fma_f64 v[28:29], s[48:49], v[124:125], v[22:23]
	v_fma_f64 v[16:17], v[176:177], s[0:1], -v[16:17]
	v_add_f64 v[38:39], v[28:29], v[56:57]
	v_mul_f64 v[28:29], v[126:127], s[46:47]
	v_add_f64 v[16:17], v[16:17], v[30:31]
	v_fma_f64 v[30:31], s[8:9], v[176:177], v[28:29]
	v_fmac_f64_e32 v[22:23], s[38:39], v[124:125]
	v_add_f64 v[44:45], v[30:31], v[50:51]
	v_mul_f64 v[30:31], v[178:179], s[8:9]
	v_add_f64 v[22:23], v[22:23], v[40:41]
	v_fma_f64 v[40:41], s[14:15], v[124:125], v[30:31]
	v_add_f64 v[46:47], v[40:41], v[68:69]
	v_mul_f64 v[40:41], v[126:127], s[34:35]
	v_fma_f64 v[42:43], s[24:25], v[176:177], v[40:41]
	v_fmac_f64_e32 v[30:31], s[46:47], v[124:125]
	v_add_f64 v[52:53], v[42:43], v[58:59]
	v_mul_f64 v[42:43], v[178:179], s[24:25]
	v_add_f64 v[30:31], v[30:31], v[48:49]
	v_fma_f64 v[48:49], s[52:53], v[124:125], v[42:43]
	v_add_f64 v[54:55], v[48:49], v[156:157]
	v_mul_f64 v[48:49], v[126:127], s[40:41]
	v_fma_f64 v[50:51], s[12:13], v[176:177], v[48:49]
	v_add_f64 v[56:57], v[50:51], v[64:65]
	v_mul_f64 v[50:51], v[178:179], s[12:13]
	v_fma_f64 v[48:49], v[176:177], s[12:13], -v[48:49]
	v_fma_f64 v[58:59], s[18:19], v[124:125], v[50:51]
	v_add_f64 v[48:49], v[48:49], v[60:61]
	v_fmac_f64_e32 v[50:51], s[40:41], v[124:125]
	v_mul_f64 v[60:61], v[126:127], s[26:27]
	v_add_f64 v[50:51], v[50:51], v[62:63]
	v_fma_f64 v[62:63], s[20:21], v[176:177], v[60:61]
	v_add_f64 v[64:65], v[62:63], v[74:75]
	v_mul_f64 v[74:75], v[126:127], s[54:55]
	v_mul_f64 v[62:63], v[178:179], s[20:21]
	v_fma_f64 v[68:69], s[16:17], v[176:177], v[74:75]
	v_fma_f64 v[66:67], s[44:45], v[124:125], v[62:63]
	v_fmac_f64_e32 v[62:63], s[26:27], v[124:125]
	v_add_f64 v[68:69], v[68:69], v[72:73]
	v_mul_f64 v[72:73], v[178:179], s[16:17]
	v_fma_f64 v[12:13], v[176:177], s[36:37], -v[12:13]
	v_add_f64 v[62:63], v[62:63], v[70:71]
	v_fma_f64 v[70:71], s[22:23], v[124:125], v[72:73]
	v_fmac_f64_e32 v[72:73], s[54:55], v[124:125]
	v_add_f64 v[12:13], v[12:13], v[78:79]
	v_fma_f64 v[74:75], v[176:177], s[16:17], -v[74:75]
	v_add_f64 v[78:79], v[72:73], v[170:171]
	v_add_f64 v[72:73], v[4:5], v[172:173]
	;; [unrolled: 1-line block ×30, first 2 shown]
	v_fmac_f64_e32 v[14:15], s[42:43], v[124:125]
	v_fmac_f64_e32 v[42:43], s[34:35], v[124:125]
	v_add_f64 v[74:75], v[74:75], v[142:143]
	v_add_f64 v[72:73], v[72:73], v[148:149]
	;; [unrolled: 1-line block ×4, first 2 shown]
	v_fmac_f64_e32 v[18:19], s[30:31], v[124:125]
	v_fma_f64 v[40:41], v[176:177], s[24:25], -v[40:41]
	v_add_f64 v[42:43], v[42:43], v[164:165]
	v_fma_f64 v[60:61], v[176:177], s[20:21], -v[60:61]
	v_add_f64 v[74:75], v[74:75], v[150:151]
	v_add_f64 v[72:73], v[72:73], v[120:121]
	;; [unrolled: 1-line block ×3, first 2 shown]
	v_add_f64 v[120:121], v[172:173], -v[120:121]
	v_mul_f64 v[132:133], v[126:127], s[0:1]
	v_mul_f64 v[156:157], v[126:127], s[8:9]
	v_mul_f64 v[164:165], v[126:127], s[12:13]
	v_mul_f64 v[172:173], v[126:127], s[16:17]
	v_mul_f64 v[182:183], v[126:127], s[20:21]
	v_mul_f64 v[196:197], v[126:127], s[24:25]
	v_mul_f64 v[232:233], v[126:127], s[28:29]
	v_mul_f64 v[126:127], v[126:127], s[36:37]
	v_add_f64 v[18:19], v[18:19], v[134:135]
	v_fma_f64 v[20:21], v[176:177], s[28:29], -v[20:21]
	v_add_f64 v[40:41], v[40:41], v[158:159]
	v_add_f64 v[60:61], v[60:61], v[166:167]
	;; [unrolled: 1-line block ×3, first 2 shown]
	v_add_f64 v[122:123], v[174:175], -v[122:123]
	v_fma_f64 v[134:135], s[30:31], v[120:121], v[132:133]
	v_fmac_f64_e32 v[132:133], s[10:11], v[120:121]
	v_fma_f64 v[158:159], s[46:47], v[120:121], v[156:157]
	v_fmac_f64_e32 v[156:157], s[14:15], v[120:121]
	;; [unrolled: 2-line block ×8, first 2 shown]
	v_add_f64 v[20:21], v[20:21], v[152:153]
	v_fma_f64 v[28:29], v[176:177], s[8:9], -v[28:29]
	v_add_f64 v[58:59], v[58:59], v[160:161]
	v_mul_f64 v[128:129], v[122:123], s[10:11]
	v_add_f64 v[134:135], v[6:7], v[134:135]
	v_add_f64 v[132:133], v[6:7], v[132:133]
	v_mul_f64 v[152:153], v[122:123], s[14:15]
	v_add_f64 v[158:159], v[6:7], v[158:159]
	;; [unrolled: 3-line block ×8, first 2 shown]
	v_add_f64 v[6:7], v[6:7], v[126:127]
	v_add_f64 v[126:127], v[146:147], -v[150:151]
	v_add_f64 v[28:29], v[28:29], v[154:155]
	v_add_f64 v[66:67], v[66:67], v[162:163]
	v_fma_f64 v[130:131], s[0:1], v[124:125], v[128:129]
	v_fma_f64 v[128:129], v[124:125], s[0:1], -v[128:129]
	v_fma_f64 v[154:155], s[8:9], v[124:125], v[152:153]
	v_fma_f64 v[152:153], v[124:125], s[8:9], -v[152:153]
	;; [unrolled: 2-line block ×8, first 2 shown]
	v_add_f64 v[120:121], v[144:145], v[148:149]
	v_add_f64 v[124:125], v[144:145], -v[148:149]
	v_mul_f64 v[144:145], v[126:127], s[14:15]
	v_add_f64 v[130:131], v[4:5], v[130:131]
	v_add_f64 v[128:129], v[4:5], v[128:129]
	;; [unrolled: 1-line block ×17, first 2 shown]
	v_fma_f64 v[146:147], s[8:9], v[120:121], v[144:145]
	v_add_f64 v[130:131], v[146:147], v[130:131]
	v_mul_f64 v[146:147], v[122:123], s[8:9]
	v_fma_f64 v[144:145], v[120:121], s[8:9], -v[144:145]
	v_fma_f64 v[148:149], s[46:47], v[124:125], v[146:147]
	v_add_f64 v[128:129], v[144:145], v[128:129]
	v_fmac_f64_e32 v[146:147], s[14:15], v[124:125]
	v_mul_f64 v[144:145], v[126:127], s[22:23]
	v_add_f64 v[134:135], v[148:149], v[134:135]
	v_add_f64 v[132:133], v[146:147], v[132:133]
	v_fma_f64 v[146:147], s[16:17], v[120:121], v[144:145]
	v_mul_f64 v[148:149], v[122:123], s[16:17]
	v_fma_f64 v[144:145], v[120:121], s[16:17], -v[144:145]
	v_fma_f64 v[150:151], s[54:55], v[124:125], v[148:149]
	v_add_f64 v[144:145], v[144:145], v[152:153]
	v_fmac_f64_e32 v[148:149], s[22:23], v[124:125]
	v_mul_f64 v[152:153], v[126:127], s[34:35]
	v_add_f64 v[146:147], v[146:147], v[154:155]
	v_add_f64 v[148:149], v[148:149], v[156:157]
	v_fma_f64 v[154:155], s[24:25], v[120:121], v[152:153]
	v_mul_f64 v[156:157], v[122:123], s[24:25]
	v_fma_f64 v[152:153], v[120:121], s[24:25], -v[152:153]
	v_add_f64 v[150:151], v[150:151], v[158:159]
	v_fma_f64 v[158:159], s[52:53], v[124:125], v[156:157]
	v_add_f64 v[152:153], v[152:153], v[160:161]
	v_fmac_f64_e32 v[156:157], s[34:35], v[124:125]
	v_mul_f64 v[160:161], v[126:127], s[42:43]
	v_add_f64 v[154:155], v[154:155], v[162:163]
	v_add_f64 v[156:157], v[156:157], v[164:165]
	v_fma_f64 v[162:163], s[36:37], v[120:121], v[160:161]
	v_mul_f64 v[164:165], v[122:123], s[36:37]
	v_fma_f64 v[160:161], v[120:121], s[36:37], -v[160:161]
	v_add_f64 v[158:159], v[158:159], v[166:167]
	;; [unrolled: 10-line block ×4, first 2 shown]
	v_fma_f64 v[184:185], s[26:27], v[124:125], v[182:183]
	v_add_f64 v[176:177], v[176:177], v[192:193]
	v_fmac_f64_e32 v[182:183], s[44:45], v[124:125]
	v_mul_f64 v[192:193], v[126:127], s[40:41]
	v_add_f64 v[178:179], v[178:179], v[194:195]
	v_add_f64 v[182:183], v[182:183], v[196:197]
	v_fma_f64 v[194:195], s[12:13], v[120:121], v[192:193]
	v_mul_f64 v[196:197], v[122:123], s[12:13]
	v_mul_f64 v[122:123], v[122:123], s[0:1]
	v_add_f64 v[194:195], v[194:195], v[214:215]
	v_fma_f64 v[192:193], v[120:121], s[12:13], -v[192:193]
	v_mul_f64 v[126:127], v[126:127], s[30:31]
	v_fma_f64 v[214:215], s[10:11], v[124:125], v[122:123]
	v_fmac_f64_e32 v[122:123], s[30:31], v[124:125]
	v_add_f64 v[192:193], v[192:193], v[212:213]
	v_fma_f64 v[212:213], s[0:1], v[120:121], v[126:127]
	v_fma_f64 v[120:121], v[120:121], s[0:1], -v[126:127]
	v_add_f64 v[6:7], v[122:123], v[6:7]
	v_add_f64 v[122:123], v[110:111], v[142:143]
	v_add_f64 v[110:111], v[110:111], -v[142:143]
	v_add_f64 v[184:185], v[184:185], v[198:199]
	v_fma_f64 v[198:199], s[18:19], v[124:125], v[196:197]
	v_fmac_f64_e32 v[196:197], s[40:41], v[124:125]
	v_add_f64 v[4:5], v[120:121], v[4:5]
	v_add_f64 v[120:121], v[108:109], v[140:141]
	v_mul_f64 v[124:125], v[110:111], s[18:19]
	v_fma_f64 v[126:127], s[12:13], v[120:121], v[124:125]
	v_add_f64 v[108:109], v[108:109], -v[140:141]
	v_add_f64 v[126:127], v[126:127], v[130:131]
	v_mul_f64 v[130:131], v[122:123], s[12:13]
	v_fma_f64 v[140:141], s[40:41], v[108:109], v[130:131]
	v_fma_f64 v[124:125], v[120:121], s[12:13], -v[124:125]
	v_fmac_f64_e32 v[130:131], s[18:19], v[108:109]
	v_add_f64 v[124:125], v[124:125], v[128:129]
	v_add_f64 v[128:129], v[130:131], v[132:133]
	v_mul_f64 v[130:131], v[110:111], s[34:35]
	v_fma_f64 v[132:133], s[24:25], v[120:121], v[130:131]
	v_fma_f64 v[130:131], v[120:121], s[24:25], -v[130:131]
	v_add_f64 v[130:131], v[130:131], v[144:145]
	v_mul_f64 v[144:145], v[110:111], s[50:51]
	v_add_f64 v[134:135], v[140:141], v[134:135]
	v_add_f64 v[132:133], v[132:133], v[146:147]
	v_mul_f64 v[140:141], v[122:123], s[24:25]
	v_fma_f64 v[146:147], s[36:37], v[120:121], v[144:145]
	v_fma_f64 v[144:145], v[120:121], s[36:37], -v[144:145]
	v_fma_f64 v[142:143], s[52:53], v[108:109], v[140:141]
	v_fmac_f64_e32 v[140:141], s[34:35], v[108:109]
	v_add_f64 v[144:145], v[144:145], v[152:153]
	v_mul_f64 v[152:153], v[110:111], s[44:45]
	v_add_f64 v[140:141], v[140:141], v[148:149]
	v_add_f64 v[146:147], v[146:147], v[154:155]
	v_mul_f64 v[148:149], v[122:123], s[36:37]
	v_fma_f64 v[154:155], s[20:21], v[120:121], v[152:153]
	v_fma_f64 v[152:153], v[120:121], s[20:21], -v[152:153]
	v_add_f64 v[142:143], v[142:143], v[150:151]
	v_fma_f64 v[150:151], s[42:43], v[108:109], v[148:149]
	v_fmac_f64_e32 v[148:149], s[50:51], v[108:109]
	v_add_f64 v[152:153], v[152:153], v[160:161]
	v_mul_f64 v[160:161], v[110:111], s[46:47]
	v_add_f64 v[148:149], v[148:149], v[156:157]
	v_add_f64 v[154:155], v[154:155], v[162:163]
	v_mul_f64 v[156:157], v[122:123], s[20:21]
	v_fma_f64 v[162:163], s[8:9], v[120:121], v[160:161]
	v_fma_f64 v[160:161], v[120:121], s[8:9], -v[160:161]
	v_add_f64 v[150:151], v[150:151], v[158:159]
	;; [unrolled: 10-line block ×3, first 2 shown]
	v_fma_f64 v[166:167], s[14:15], v[108:109], v[164:165]
	v_fmac_f64_e32 v[164:165], s[46:47], v[108:109]
	v_add_f64 v[168:169], v[168:169], v[176:177]
	v_mul_f64 v[176:177], v[110:111], s[22:23]
	v_add_f64 v[164:165], v[164:165], v[172:173]
	v_add_f64 v[170:171], v[170:171], v[178:179]
	v_mul_f64 v[172:173], v[122:123], s[0:1]
	v_fma_f64 v[178:179], s[16:17], v[120:121], v[176:177]
	v_fma_f64 v[176:177], v[120:121], s[16:17], -v[176:177]
	v_mul_f64 v[110:111], v[110:111], s[38:39]
	v_add_f64 v[166:167], v[166:167], v[174:175]
	v_fma_f64 v[174:175], s[30:31], v[108:109], v[172:173]
	v_fmac_f64_e32 v[172:173], s[10:11], v[108:109]
	v_add_f64 v[176:177], v[176:177], v[192:193]
	v_fma_f64 v[192:193], s[28:29], v[120:121], v[110:111]
	v_fma_f64 v[110:111], v[120:121], s[28:29], -v[110:111]
	v_add_f64 v[172:173], v[172:173], v[182:183]
	v_mul_f64 v[182:183], v[122:123], s[16:17]
	v_mul_f64 v[122:123], v[122:123], s[28:29]
	v_add_f64 v[4:5], v[110:111], v[4:5]
	v_add_f64 v[110:111], v[106:107], v[138:139]
	v_add_f64 v[106:107], v[106:107], -v[138:139]
	v_add_f64 v[174:175], v[174:175], v[184:185]
	v_add_f64 v[178:179], v[178:179], v[194:195]
	v_fma_f64 v[184:185], s[54:55], v[108:109], v[182:183]
	v_fmac_f64_e32 v[182:183], s[22:23], v[108:109]
	v_fma_f64 v[194:195], s[48:49], v[108:109], v[122:123]
	v_fmac_f64_e32 v[122:123], s[38:39], v[108:109]
	v_add_f64 v[108:109], v[104:105], v[136:137]
	v_mul_f64 v[120:121], v[106:107], s[22:23]
	v_add_f64 v[6:7], v[122:123], v[6:7]
	v_fma_f64 v[122:123], s[16:17], v[108:109], v[120:121]
	v_add_f64 v[104:105], v[104:105], -v[136:137]
	v_add_f64 v[122:123], v[122:123], v[126:127]
	v_mul_f64 v[126:127], v[110:111], s[16:17]
	v_fma_f64 v[136:137], s[54:55], v[104:105], v[126:127]
	v_fma_f64 v[120:121], v[108:109], s[16:17], -v[120:121]
	v_fmac_f64_e32 v[126:127], s[22:23], v[104:105]
	v_add_f64 v[120:121], v[120:121], v[124:125]
	v_add_f64 v[124:125], v[126:127], v[128:129]
	v_mul_f64 v[126:127], v[106:107], s[42:43]
	v_fma_f64 v[128:129], s[36:37], v[108:109], v[126:127]
	v_add_f64 v[128:129], v[128:129], v[132:133]
	v_mul_f64 v[132:133], v[110:111], s[36:37]
	v_add_f64 v[134:135], v[136:137], v[134:135]
	v_fma_f64 v[136:137], s[50:51], v[104:105], v[132:133]
	v_fma_f64 v[126:127], v[108:109], s[36:37], -v[126:127]
	v_fmac_f64_e32 v[132:133], s[42:43], v[104:105]
	v_add_f64 v[126:127], v[126:127], v[130:131]
	v_add_f64 v[130:131], v[132:133], v[140:141]
	v_mul_f64 v[132:133], v[106:107], s[44:45]
	v_fma_f64 v[138:139], s[20:21], v[108:109], v[132:133]
	v_mul_f64 v[140:141], v[110:111], s[20:21]
	v_fma_f64 v[132:133], v[108:109], s[20:21], -v[132:133]
	v_add_f64 v[136:137], v[136:137], v[142:143]
	v_fma_f64 v[142:143], s[26:27], v[104:105], v[140:141]
	v_add_f64 v[132:133], v[132:133], v[144:145]
	v_fmac_f64_e32 v[140:141], s[44:45], v[104:105]
	v_mul_f64 v[144:145], v[106:107], s[30:31]
	v_add_f64 v[138:139], v[138:139], v[146:147]
	v_add_f64 v[140:141], v[140:141], v[148:149]
	v_fma_f64 v[146:147], s[0:1], v[108:109], v[144:145]
	v_mul_f64 v[148:149], v[110:111], s[0:1]
	v_fma_f64 v[144:145], v[108:109], s[0:1], -v[144:145]
	v_add_f64 v[142:143], v[142:143], v[150:151]
	v_fma_f64 v[150:151], s[10:11], v[104:105], v[148:149]
	v_add_f64 v[144:145], v[144:145], v[152:153]
	v_fmac_f64_e32 v[148:149], s[30:31], v[104:105]
	v_mul_f64 v[152:153], v[106:107], s[18:19]
	v_add_f64 v[146:147], v[146:147], v[154:155]
	v_add_f64 v[148:149], v[148:149], v[156:157]
	;; [unrolled: 10-line block ×4, first 2 shown]
	v_fma_f64 v[170:171], s[24:25], v[108:109], v[168:169]
	v_mul_f64 v[172:173], v[110:111], s[24:25]
	v_mul_f64 v[110:111], v[110:111], s[8:9]
	v_add_f64 v[170:171], v[170:171], v[178:179]
	v_fma_f64 v[168:169], v[108:109], s[24:25], -v[168:169]
	v_mul_f64 v[106:107], v[106:107], s[46:47]
	v_fma_f64 v[178:179], s[14:15], v[104:105], v[110:111]
	v_fmac_f64_e32 v[110:111], s[46:47], v[104:105]
	v_add_f64 v[168:169], v[168:169], v[176:177]
	v_fma_f64 v[176:177], s[8:9], v[108:109], v[106:107]
	v_fma_f64 v[106:107], v[108:109], s[8:9], -v[106:107]
	v_add_f64 v[6:7], v[110:111], v[6:7]
	v_add_f64 v[110:111], v[114:115], -v[118:119]
	v_add_f64 v[166:167], v[166:167], v[174:175]
	v_fma_f64 v[174:175], s[34:35], v[104:105], v[172:173]
	v_fmac_f64_e32 v[172:173], s[52:53], v[104:105]
	v_add_f64 v[4:5], v[106:107], v[4:5]
	v_add_f64 v[104:105], v[112:113], v[116:117]
	;; [unrolled: 1-line block ×3, first 2 shown]
	v_add_f64 v[108:109], v[112:113], -v[116:117]
	v_mul_f64 v[112:113], v[110:111], s[26:27]
	v_fma_f64 v[114:115], s[20:21], v[104:105], v[112:113]
	v_mul_f64 v[116:117], v[106:107], s[20:21]
	v_fma_f64 v[112:113], v[104:105], s[20:21], -v[112:113]
	v_fma_f64 v[118:119], s[44:45], v[108:109], v[116:117]
	v_add_f64 v[112:113], v[112:113], v[120:121]
	v_fmac_f64_e32 v[116:117], s[26:27], v[108:109]
	v_mul_f64 v[120:121], v[110:111], s[48:49]
	v_add_f64 v[114:115], v[114:115], v[122:123]
	v_add_f64 v[116:117], v[116:117], v[124:125]
	v_fma_f64 v[122:123], s[28:29], v[104:105], v[120:121]
	v_mul_f64 v[124:125], v[106:107], s[28:29]
	v_fma_f64 v[120:121], v[104:105], s[28:29], -v[120:121]
	v_add_f64 v[118:119], v[118:119], v[134:135]
	v_add_f64 v[122:123], v[122:123], v[128:129]
	v_fma_f64 v[128:129], s[38:39], v[108:109], v[124:125]
	v_add_f64 v[120:121], v[120:121], v[126:127]
	v_fmac_f64_e32 v[124:125], s[48:49], v[108:109]
	v_mul_f64 v[126:127], v[110:111], s[46:47]
	v_mul_f64 v[134:135], v[106:107], s[8:9]
	v_add_f64 v[128:129], v[128:129], v[136:137]
	v_add_f64 v[124:125], v[124:125], v[130:131]
	v_fma_f64 v[130:131], s[8:9], v[104:105], v[126:127]
	v_fma_f64 v[136:137], s[14:15], v[108:109], v[134:135]
	v_fma_f64 v[126:127], v[104:105], s[8:9], -v[126:127]
	v_fmac_f64_e32 v[134:135], s[46:47], v[108:109]
	v_add_f64 v[126:127], v[126:127], v[132:133]
	v_add_f64 v[132:133], v[134:135], v[140:141]
	v_mul_f64 v[134:135], v[110:111], s[18:19]
	v_add_f64 v[130:131], v[130:131], v[138:139]
	v_fma_f64 v[138:139], s[12:13], v[104:105], v[134:135]
	v_mul_f64 v[140:141], v[106:107], s[12:13]
	v_fma_f64 v[134:135], v[104:105], s[12:13], -v[134:135]
	v_add_f64 v[136:137], v[136:137], v[142:143]
	v_fma_f64 v[142:143], s[40:41], v[108:109], v[140:141]
	v_add_f64 v[134:135], v[134:135], v[144:145]
	v_fmac_f64_e32 v[140:141], s[18:19], v[108:109]
	v_mul_f64 v[144:145], v[110:111], s[42:43]
	v_add_f64 v[138:139], v[138:139], v[146:147]
	v_add_f64 v[140:141], v[140:141], v[148:149]
	v_fma_f64 v[146:147], s[36:37], v[104:105], v[144:145]
	v_mul_f64 v[148:149], v[106:107], s[36:37]
	v_fma_f64 v[144:145], v[104:105], s[36:37], -v[144:145]
	v_add_f64 v[142:143], v[142:143], v[150:151]
	v_fma_f64 v[150:151], s[50:51], v[108:109], v[148:149]
	v_add_f64 v[144:145], v[144:145], v[152:153]
	v_fmac_f64_e32 v[148:149], s[42:43], v[108:109]
	v_mul_f64 v[152:153], v[110:111], s[54:55]
	v_add_f64 v[146:147], v[146:147], v[154:155]
	;; [unrolled: 10-line block ×3, first 2 shown]
	v_add_f64 v[156:157], v[156:157], v[164:165]
	v_fma_f64 v[162:163], s[0:1], v[104:105], v[160:161]
	v_mul_f64 v[164:165], v[106:107], s[0:1]
	v_mul_f64 v[106:107], v[106:107], s[24:25]
	v_add_f64 v[162:163], v[162:163], v[170:171]
	v_fma_f64 v[160:161], v[104:105], s[0:1], -v[160:161]
	v_mul_f64 v[110:111], v[110:111], s[34:35]
	v_fma_f64 v[170:171], s[52:53], v[108:109], v[106:107]
	v_fmac_f64_e32 v[106:107], s[34:35], v[108:109]
	v_add_f64 v[160:161], v[160:161], v[168:169]
	v_fma_f64 v[168:169], s[24:25], v[104:105], v[110:111]
	v_fma_f64 v[104:105], v[104:105], s[24:25], -v[110:111]
	v_add_f64 v[6:7], v[106:107], v[6:7]
	v_add_f64 v[106:107], v[98:99], v[102:103]
	v_add_f64 v[98:99], v[98:99], -v[102:103]
	v_add_f64 v[4:5], v[104:105], v[4:5]
	v_add_f64 v[104:105], v[96:97], v[100:101]
	v_add_f64 v[96:97], v[96:97], -v[100:101]
	v_mul_f64 v[100:101], v[98:99], s[34:35]
	v_fma_f64 v[102:103], s[24:25], v[104:105], v[100:101]
	v_fma_f64 v[100:101], v[104:105], s[24:25], -v[100:101]
	v_add_f64 v[100:101], v[100:101], v[112:113]
	v_mul_f64 v[112:113], v[98:99], s[44:45]
	v_add_f64 v[158:159], v[158:159], v[166:167]
	v_fma_f64 v[166:167], s[30:31], v[108:109], v[164:165]
	v_fmac_f64_e32 v[164:165], s[10:11], v[108:109]
	v_add_f64 v[102:103], v[102:103], v[114:115]
	v_mul_f64 v[108:109], v[106:107], s[24:25]
	v_fma_f64 v[114:115], s[20:21], v[104:105], v[112:113]
	v_fma_f64 v[112:113], v[104:105], s[20:21], -v[112:113]
	v_fma_f64 v[110:111], s[52:53], v[96:97], v[108:109]
	v_fmac_f64_e32 v[108:109], s[34:35], v[96:97]
	v_add_f64 v[112:113], v[112:113], v[120:121]
	v_mul_f64 v[120:121], v[98:99], s[10:11]
	v_add_f64 v[108:109], v[108:109], v[116:117]
	v_add_f64 v[114:115], v[114:115], v[122:123]
	v_mul_f64 v[116:117], v[106:107], s[20:21]
	v_fma_f64 v[122:123], s[0:1], v[104:105], v[120:121]
	v_fma_f64 v[120:121], v[104:105], s[0:1], -v[120:121]
	v_add_f64 v[110:111], v[110:111], v[118:119]
	v_fma_f64 v[118:119], s[26:27], v[96:97], v[116:117]
	v_fmac_f64_e32 v[116:117], s[44:45], v[96:97]
	v_add_f64 v[120:121], v[120:121], v[126:127]
	v_mul_f64 v[126:127], v[98:99], s[38:39]
	v_add_f64 v[116:117], v[116:117], v[124:125]
	v_add_f64 v[122:123], v[122:123], v[130:131]
	v_mul_f64 v[124:125], v[106:107], s[0:1]
	v_fma_f64 v[130:131], s[28:29], v[104:105], v[126:127]
	v_fma_f64 v[126:127], v[104:105], s[28:29], -v[126:127]
	v_add_f64 v[118:119], v[118:119], v[128:129]
	v_fma_f64 v[128:129], s[30:31], v[96:97], v[124:125]
	v_fmac_f64_e32 v[124:125], s[10:11], v[96:97]
	v_add_f64 v[126:127], v[126:127], v[134:135]
	v_mul_f64 v[134:135], v[98:99], s[54:55]
	v_add_f64 v[124:125], v[124:125], v[132:133]
	v_add_f64 v[130:131], v[130:131], v[138:139]
	v_mul_f64 v[132:133], v[106:107], s[28:29]
	v_fma_f64 v[138:139], s[16:17], v[104:105], v[134:135]
	v_fma_f64 v[134:135], v[104:105], s[16:17], -v[134:135]
	v_add_f64 v[128:129], v[128:129], v[136:137]
	v_fma_f64 v[136:137], s[48:49], v[96:97], v[132:133]
	v_fmac_f64_e32 v[132:133], s[38:39], v[96:97]
	v_add_f64 v[134:135], v[134:135], v[144:145]
	v_mul_f64 v[144:145], v[98:99], s[14:15]
	v_add_f64 v[132:133], v[132:133], v[140:141]
	v_add_f64 v[138:139], v[138:139], v[146:147]
	v_mul_f64 v[140:141], v[106:107], s[16:17]
	v_fma_f64 v[146:147], s[8:9], v[104:105], v[144:145]
	v_fma_f64 v[144:145], v[104:105], s[8:9], -v[144:145]
	v_add_f64 v[136:137], v[136:137], v[142:143]
	v_fma_f64 v[142:143], s[22:23], v[96:97], v[140:141]
	v_fmac_f64_e32 v[140:141], s[54:55], v[96:97]
	v_add_f64 v[144:145], v[144:145], v[152:153]
	v_mul_f64 v[152:153], v[98:99], s[42:43]
	v_add_f64 v[140:141], v[140:141], v[148:149]
	v_add_f64 v[146:147], v[146:147], v[154:155]
	v_mul_f64 v[148:149], v[106:107], s[8:9]
	v_fma_f64 v[154:155], s[36:37], v[104:105], v[152:153]
	v_fma_f64 v[152:153], v[104:105], s[36:37], -v[152:153]
	v_mul_f64 v[98:99], v[98:99], s[40:41]
	v_add_f64 v[142:143], v[142:143], v[150:151]
	v_fma_f64 v[150:151], s[46:47], v[96:97], v[148:149]
	v_fmac_f64_e32 v[148:149], s[14:15], v[96:97]
	v_add_f64 v[152:153], v[152:153], v[160:161]
	v_fma_f64 v[160:161], s[12:13], v[104:105], v[98:99]
	v_fma_f64 v[98:99], v[104:105], s[12:13], -v[98:99]
	v_add_f64 v[148:149], v[148:149], v[156:157]
	v_mul_f64 v[156:157], v[106:107], s[36:37]
	v_mul_f64 v[106:107], v[106:107], s[12:13]
	v_add_f64 v[4:5], v[98:99], v[4:5]
	v_add_f64 v[98:99], v[90:91], v[94:95]
	v_add_f64 v[90:91], v[90:91], -v[94:95]
	v_add_f64 v[150:151], v[150:151], v[158:159]
	v_add_f64 v[154:155], v[154:155], v[162:163]
	v_fma_f64 v[158:159], s[50:51], v[96:97], v[156:157]
	v_fmac_f64_e32 v[156:157], s[42:43], v[96:97]
	v_fma_f64 v[162:163], s[18:19], v[96:97], v[106:107]
	v_fmac_f64_e32 v[106:107], s[40:41], v[96:97]
	v_add_f64 v[96:97], v[88:89], v[92:93]
	v_add_f64 v[88:89], v[88:89], -v[92:93]
	v_mul_f64 v[92:93], v[90:91], s[38:39]
	v_fma_f64 v[94:95], s[28:29], v[96:97], v[92:93]
	v_add_f64 v[94:95], v[94:95], v[102:103]
	v_mul_f64 v[102:103], v[98:99], s[28:29]
	v_fma_f64 v[104:105], s[48:49], v[88:89], v[102:103]
	v_fma_f64 v[92:93], v[96:97], s[28:29], -v[92:93]
	v_fmac_f64_e32 v[102:103], s[38:39], v[88:89]
	v_add_f64 v[92:93], v[92:93], v[100:101]
	v_add_f64 v[100:101], v[102:103], v[108:109]
	v_mul_f64 v[102:103], v[90:91], s[40:41]
	v_add_f64 v[6:7], v[106:107], v[6:7]
	v_fma_f64 v[106:107], s[12:13], v[96:97], v[102:103]
	v_mul_f64 v[108:109], v[98:99], s[12:13]
	v_fma_f64 v[102:103], v[96:97], s[12:13], -v[102:103]
	v_add_f64 v[104:105], v[104:105], v[110:111]
	v_fma_f64 v[110:111], s[18:19], v[88:89], v[108:109]
	v_add_f64 v[102:103], v[102:103], v[112:113]
	v_fmac_f64_e32 v[108:109], s[40:41], v[88:89]
	v_mul_f64 v[112:113], v[90:91], s[22:23]
	v_add_f64 v[106:107], v[106:107], v[114:115]
	v_add_f64 v[108:109], v[108:109], v[116:117]
	v_fma_f64 v[114:115], s[16:17], v[96:97], v[112:113]
	v_mul_f64 v[116:117], v[98:99], s[16:17]
	v_fma_f64 v[112:113], v[96:97], s[16:17], -v[112:113]
	v_add_f64 v[110:111], v[110:111], v[118:119]
	v_fma_f64 v[118:119], s[54:55], v[88:89], v[116:117]
	v_add_f64 v[112:113], v[112:113], v[120:121]
	v_fmac_f64_e32 v[116:117], s[22:23], v[88:89]
	v_mul_f64 v[120:121], v[90:91], s[52:53]
	v_add_f64 v[114:115], v[114:115], v[122:123]
	v_add_f64 v[116:117], v[116:117], v[124:125]
	v_fma_f64 v[122:123], s[24:25], v[96:97], v[120:121]
	v_mul_f64 v[124:125], v[98:99], s[24:25]
	v_fma_f64 v[120:121], v[96:97], s[24:25], -v[120:121]
	v_add_f64 v[118:119], v[118:119], v[128:129]
	v_fma_f64 v[128:129], s[34:35], v[88:89], v[124:125]
	v_add_f64 v[120:121], v[120:121], v[126:127]
	v_fmac_f64_e32 v[124:125], s[52:53], v[88:89]
	v_mul_f64 v[126:127], v[90:91], s[10:11]
	v_add_f64 v[122:123], v[122:123], v[130:131]
	v_add_f64 v[124:125], v[124:125], v[132:133]
	v_fma_f64 v[130:131], s[0:1], v[96:97], v[126:127]
	v_mul_f64 v[132:133], v[98:99], s[0:1]
	v_fma_f64 v[126:127], v[96:97], s[0:1], -v[126:127]
	v_add_f64 v[198:199], v[198:199], v[234:235]
	v_add_f64 v[196:197], v[196:197], v[232:233]
	v_add_f64 v[212:213], v[212:213], v[252:253]
	v_add_f64 v[128:129], v[128:129], v[136:137]
	v_fma_f64 v[136:137], s[30:31], v[88:89], v[132:133]
	v_add_f64 v[126:127], v[126:127], v[134:135]
	v_fmac_f64_e32 v[132:133], s[10:11], v[88:89]
	v_mul_f64 v[134:135], v[90:91], s[42:43]
	v_add_f64 v[214:215], v[214:215], v[254:255]
	v_add_f64 v[184:185], v[184:185], v[198:199]
	;; [unrolled: 1-line block ×6, first 2 shown]
	v_fma_f64 v[138:139], s[36:37], v[96:97], v[134:135]
	v_mul_f64 v[140:141], v[98:99], s[36:37]
	v_fma_f64 v[134:135], v[96:97], s[36:37], -v[134:135]
	v_add_f64 v[194:195], v[194:195], v[214:215]
	v_add_f64 v[174:175], v[174:175], v[184:185]
	;; [unrolled: 1-line block ×5, first 2 shown]
	v_fma_f64 v[142:143], s[50:51], v[88:89], v[140:141]
	v_add_f64 v[134:135], v[134:135], v[144:145]
	v_fmac_f64_e32 v[140:141], s[42:43], v[88:89]
	v_mul_f64 v[144:145], v[90:91], s[46:47]
	v_add_f64 v[178:179], v[178:179], v[194:195]
	v_add_f64 v[166:167], v[166:167], v[174:175]
	;; [unrolled: 1-line block ×6, first 2 shown]
	v_fma_f64 v[146:147], s[8:9], v[96:97], v[144:145]
	v_mul_f64 v[148:149], v[98:99], s[8:9]
	v_fma_f64 v[144:145], v[96:97], s[8:9], -v[144:145]
	v_mul_f64 v[90:91], v[90:91], s[26:27]
	v_add_f64 v[170:171], v[170:171], v[178:179]
	v_add_f64 v[158:159], v[158:159], v[166:167]
	;; [unrolled: 1-line block ×5, first 2 shown]
	v_fma_f64 v[150:151], s[14:15], v[88:89], v[148:149]
	v_add_f64 v[144:145], v[144:145], v[152:153]
	v_fmac_f64_e32 v[148:149], s[46:47], v[88:89]
	v_fma_f64 v[152:153], s[20:21], v[96:97], v[90:91]
	v_mul_f64 v[98:99], v[98:99], s[20:21]
	v_fma_f64 v[90:91], v[96:97], s[20:21], -v[90:91]
	v_add_f64 v[166:167], v[82:83], -v[86:87]
	v_add_f64 v[162:163], v[162:163], v[170:171]
	v_add_f64 v[146:147], v[146:147], v[154:155]
	;; [unrolled: 1-line block ×4, first 2 shown]
	v_fma_f64 v[154:155], s[44:45], v[88:89], v[98:99]
	v_add_f64 v[156:157], v[90:91], v[4:5]
	v_fmac_f64_e32 v[98:99], s[26:27], v[88:89]
	v_add_f64 v[160:161], v[80:81], v[84:85]
	v_mul_f64 v[4:5], v[166:167], s[42:43]
	v_add_f64 v[150:151], v[150:151], v[158:159]
	v_add_f64 v[154:155], v[154:155], v[162:163]
	;; [unrolled: 1-line block ×4, first 2 shown]
	v_fma_f64 v[6:7], s[36:37], v[160:161], v[4:5]
	v_add_f64 v[164:165], v[80:81], -v[84:85]
	v_add_f64 v[88:89], v[6:7], v[94:95]
	v_mul_f64 v[6:7], v[162:163], s[36:37]
	v_fma_f64 v[80:81], s[50:51], v[164:165], v[6:7]
	v_add_f64 v[90:91], v[80:81], v[104:105]
	v_mul_f64 v[80:81], v[166:167], s[30:31]
	v_fma_f64 v[4:5], v[160:161], s[36:37], -v[4:5]
	v_fma_f64 v[82:83], s[0:1], v[160:161], v[80:81]
	v_add_f64 v[4:5], v[4:5], v[92:93]
	v_add_f64 v[92:93], v[82:83], v[106:107]
	v_mul_f64 v[82:83], v[162:163], s[0:1]
	v_fma_f64 v[84:85], s[10:11], v[164:165], v[82:83]
	v_add_f64 v[94:95], v[84:85], v[110:111]
	v_mul_f64 v[84:85], v[166:167], s[38:39]
	v_fmac_f64_e32 v[6:7], s[42:43], v[164:165]
	v_fma_f64 v[86:87], s[28:29], v[160:161], v[84:85]
	v_mul_f64 v[104:105], v[166:167], s[46:47]
	v_add_f64 v[6:7], v[6:7], v[100:101]
	v_add_f64 v[96:97], v[86:87], v[114:115]
	v_mul_f64 v[86:87], v[162:163], s[28:29]
	v_fma_f64 v[84:85], v[160:161], s[28:29], -v[84:85]
	v_fma_f64 v[100:101], s[8:9], v[160:161], v[104:105]
	v_fma_f64 v[104:105], v[160:161], s[8:9], -v[104:105]
	v_fma_f64 v[80:81], v[160:161], s[0:1], -v[80:81]
	v_fmac_f64_e32 v[82:83], s[30:31], v[164:165]
	v_fma_f64 v[98:99], s[48:49], v[164:165], v[86:87]
	v_add_f64 v[84:85], v[84:85], v[112:113]
	v_fmac_f64_e32 v[86:87], s[38:39], v[164:165]
	v_mul_f64 v[106:107], v[162:163], s[8:9]
	v_add_f64 v[104:105], v[104:105], v[120:121]
	v_mul_f64 v[112:113], v[166:167], s[34:35]
	v_mul_f64 v[114:115], v[162:163], s[24:25]
	;; [unrolled: 1-line block ×3, first 2 shown]
	v_add_f64 v[80:81], v[80:81], v[102:103]
	v_add_f64 v[82:83], v[82:83], v[108:109]
	v_add_f64 v[86:87], v[86:87], v[116:117]
	v_fma_f64 v[102:103], s[14:15], v[164:165], v[106:107]
	v_fma_f64 v[108:109], s[24:25], v[160:161], v[112:113]
	;; [unrolled: 1-line block ×4, first 2 shown]
	v_add_f64 v[100:101], v[100:101], v[122:123]
	v_add_f64 v[102:103], v[102:103], v[128:129]
	v_fmac_f64_e32 v[106:107], s[46:47], v[164:165]
	v_add_f64 v[108:109], v[108:109], v[130:131]
	v_add_f64 v[110:111], v[110:111], v[136:137]
	v_fma_f64 v[112:113], v[160:161], s[24:25], -v[112:113]
	v_fmac_f64_e32 v[114:115], s[34:35], v[164:165]
	v_add_f64 v[116:117], v[116:117], v[138:139]
	v_mul_f64 v[122:123], v[162:163], s[12:13]
	v_fma_f64 v[120:121], v[160:161], s[12:13], -v[120:121]
	v_mul_f64 v[128:129], v[166:167], s[26:27]
	v_mul_f64 v[130:131], v[162:163], s[20:21]
	;; [unrolled: 1-line block ×4, first 2 shown]
	v_add_f64 v[98:99], v[98:99], v[118:119]
	v_add_f64 v[106:107], v[106:107], v[124:125]
	;; [unrolled: 1-line block ×4, first 2 shown]
	v_fma_f64 v[118:119], s[18:19], v[164:165], v[122:123]
	v_add_f64 v[120:121], v[120:121], v[134:135]
	v_fmac_f64_e32 v[122:123], s[40:41], v[164:165]
	v_fma_f64 v[124:125], s[20:21], v[160:161], v[128:129]
	v_fma_f64 v[126:127], s[44:45], v[164:165], v[130:131]
	v_fma_f64 v[128:129], v[160:161], s[20:21], -v[128:129]
	v_fmac_f64_e32 v[130:131], s[26:27], v[164:165]
	v_fma_f64 v[132:133], s[16:17], v[160:161], v[136:137]
	v_fma_f64 v[134:135], s[22:23], v[164:165], v[138:139]
	v_fma_f64 v[136:137], v[160:161], s[16:17], -v[136:137]
	v_fmac_f64_e32 v[138:139], s[54:55], v[164:165]
	v_add_f64 v[118:119], v[118:119], v[142:143]
	v_add_f64 v[122:123], v[122:123], v[140:141]
	;; [unrolled: 1-line block ×10, first 2 shown]
	ds_write_b128 v220, v[8:11]
	ds_write_b128 v220, v[24:27] offset:112
	ds_write_b128 v220, v[32:35] offset:224
	;; [unrolled: 1-line block ×16, first 2 shown]
	ds_write_b128 v190, v[72:75]
	ds_write_b128 v190, v[88:91] offset:112
	ds_write_b128 v190, v[92:95] offset:224
	;; [unrolled: 1-line block ×16, first 2 shown]
	s_and_saveexec_b64 s[56:57], vcc
	s_cbranch_execz .LBB0_9
; %bb.8:
	scratch_load_dwordx4 v[10:13], off, off offset:768 ; 16-byte Folded Reload
	scratch_load_dwordx4 v[14:17], off, off offset:848 ; 16-byte Folded Reload
	v_accvgpr_read_b32 v4, a210
	v_accvgpr_read_b32 v6, a212
	;; [unrolled: 1-line block ×28, first 2 shown]
	v_accvgpr_write_b32 a4, v191
	v_accvgpr_write_b32 a6, v210
	v_mov_b32_e32 v227, v208
	v_accvgpr_write_b32 a5, v209
	s_waitcnt vmcnt(1)
	v_mul_f64 v[56:57], v[12:13], v[6:7]
	v_fmac_f64_e32 v[56:57], v[10:11], v[4:5]
	v_mul_f64 v[4:5], v[12:13], v[4:5]
	s_waitcnt vmcnt(0)
	v_mul_f64 v[58:59], v[16:17], v[20:21]
	v_fma_f64 v[64:65], v[10:11], v[6:7], -v[4:5]
	v_mul_f64 v[4:5], v[16:17], v[18:19]
	v_fmac_f64_e32 v[58:59], v[14:15], v[18:19]
	v_fma_f64 v[66:67], v[14:15], v[20:21], -v[4:5]
	scratch_load_dwordx4 v[12:15], off, off offset:752 ; 16-byte Folded Reload
	scratch_load_dwordx4 v[16:19], off, off offset:816 ; 16-byte Folded Reload
	v_accvgpr_read_b32 v20, a124
	v_accvgpr_read_b32 v21, a125
	v_accvgpr_read_b32 v22, a126
	v_accvgpr_read_b32 v23, a127
	v_add_f64 v[126:127], v[56:57], -v[58:59]
	v_mul_f64 v[8:9], v[126:127], s[54:55]
	v_add_f64 v[100:101], v[64:65], v[66:67]
	v_add_f64 v[172:173], v[64:65], -v[66:67]
	v_fma_f64 v[4:5], s[16:17], v[100:101], v[8:9]
	v_add_f64 v[144:145], v[56:57], v[58:59]
	v_fma_f64 v[8:9], v[100:101], s[16:17], -v[8:9]
	s_waitcnt vmcnt(1)
	v_mul_f64 v[6:7], v[14:15], v[20:21]
	s_waitcnt vmcnt(0)
	v_mul_f64 v[62:63], v[18:19], v[26:27]
	v_fma_f64 v[76:77], v[12:13], v[22:23], -v[6:7]
	v_mul_f64 v[6:7], v[18:19], v[24:25]
	v_mul_f64 v[60:61], v[14:15], v[22:23]
	v_fmac_f64_e32 v[62:63], v[16:17], v[24:25]
	v_fma_f64 v[72:73], v[16:17], v[26:27], -v[6:7]
	scratch_load_dwordx4 v[16:19], off, off offset:736 ; 16-byte Folded Reload
	v_fmac_f64_e32 v[60:61], v[12:13], v[20:21]
	scratch_load_dwordx4 v[20:23], off, off offset:800 ; 16-byte Folded Reload
	v_accvgpr_read_b32 v27, a15
	v_accvgpr_read_b32 v25, a13
	v_accvgpr_read_b32 v24, a12
	v_accvgpr_read_b32 v26, a14
	v_add_f64 v[132:133], v[60:61], -v[62:63]
	v_mul_f64 v[10:11], v[132:133], s[26:27]
	v_add_f64 v[110:111], v[76:77], v[72:73]
	v_add_f64 v[174:175], v[76:77], -v[72:73]
	v_fma_f64 v[6:7], s[20:21], v[110:111], v[10:11]
	v_add_f64 v[146:147], v[60:61], v[62:63]
	v_fma_f64 v[10:11], v[110:111], s[20:21], -v[10:11]
	s_waitcnt vmcnt(1)
	v_mul_f64 v[14:15], v[18:19], v[24:25]
	v_fma_f64 v[84:85], v[16:17], v[26:27], -v[14:15]
	s_waitcnt vmcnt(0)
	v_mul_f64 v[68:69], v[22:23], v[30:31]
	v_mul_f64 v[14:15], v[22:23], v[28:29]
	v_mul_f64 v[70:71], v[18:19], v[26:27]
	v_fmac_f64_e32 v[68:69], v[20:21], v[28:29]
	v_fma_f64 v[80:81], v[20:21], v[30:31], -v[14:15]
	scratch_load_dwordx4 v[20:23], off, off offset:720 ; 16-byte Folded Reload
	v_fmac_f64_e32 v[70:71], v[16:17], v[24:25]
	scratch_load_dwordx4 v[24:27], off, off offset:784 ; 16-byte Folded Reload
	v_accvgpr_read_b32 v28, a96
	v_accvgpr_read_b32 v29, a97
	v_accvgpr_read_b32 v30, a98
	v_accvgpr_read_b32 v31, a99
	v_add_f64 v[136:137], v[70:71], -v[68:69]
	v_mul_f64 v[12:13], v[136:137], s[40:41]
	v_add_f64 v[118:119], v[84:85], v[80:81]
	v_add_f64 v[192:193], v[84:85], -v[80:81]
	v_fma_f64 v[14:15], s[12:13], v[118:119], v[12:13]
	v_add_f64 v[150:151], v[70:71], v[68:69]
	v_fma_f64 v[12:13], v[118:119], s[12:13], -v[12:13]
	s_waitcnt vmcnt(1)
	v_mul_f64 v[18:19], v[22:23], v[28:29]
	v_fma_f64 v[92:93], v[20:21], v[30:31], -v[18:19]
	s_waitcnt vmcnt(0)
	v_mul_f64 v[74:75], v[26:27], v[34:35]
	v_mul_f64 v[18:19], v[26:27], v[32:33]
	v_mul_f64 v[78:79], v[22:23], v[30:31]
	v_fmac_f64_e32 v[74:75], v[24:25], v[32:33]
	v_fma_f64 v[88:89], v[24:25], v[34:35], -v[18:19]
	scratch_load_dwordx4 v[24:27], off, off offset:704 ; 16-byte Folded Reload
	v_fmac_f64_e32 v[78:79], v[20:21], v[28:29]
	scratch_load_dwordx4 v[28:31], off, off offset:896 ; 16-byte Folded Reload
	v_accvgpr_read_b32 v32, a84
	v_accvgpr_read_b32 v33, a85
	v_accvgpr_read_b32 v34, a86
	v_accvgpr_read_b32 v35, a87
	v_add_f64 v[140:141], v[78:79], -v[74:75]
	v_mul_f64 v[16:17], v[140:141], s[34:35]
	v_add_f64 v[124:125], v[92:93], v[88:89]
	v_add_f64 v[194:195], v[92:93], -v[88:89]
	v_fma_f64 v[18:19], s[24:25], v[124:125], v[16:17]
	v_add_f64 v[152:153], v[78:79], v[74:75]
	v_fma_f64 v[16:17], v[124:125], s[24:25], -v[16:17]
	s_waitcnt vmcnt(1)
	v_mul_f64 v[22:23], v[26:27], v[32:33]
	v_fma_f64 v[102:103], v[24:25], v[34:35], -v[22:23]
	s_waitcnt vmcnt(0)
	v_mul_f64 v[82:83], v[30:31], v[38:39]
	v_mul_f64 v[22:23], v[30:31], v[36:37]
	v_mul_f64 v[86:87], v[26:27], v[34:35]
	v_fmac_f64_e32 v[82:83], v[28:29], v[36:37]
	v_fma_f64 v[96:97], v[28:29], v[38:39], -v[22:23]
	scratch_load_dwordx4 v[28:31], off, off offset:688 ; 16-byte Folded Reload
	v_fmac_f64_e32 v[86:87], v[24:25], v[32:33]
	scratch_load_dwordx4 v[32:35], off, off offset:880 ; 16-byte Folded Reload
	v_accvgpr_read_b32 v36, a64
	v_accvgpr_read_b32 v37, a65
	v_accvgpr_read_b32 v38, a66
	v_accvgpr_read_b32 v39, a67
	v_add_f64 v[148:149], v[86:87], -v[82:83]
	v_mul_f64 v[20:21], v[148:149], s[46:47]
	v_add_f64 v[130:131], v[102:103], v[96:97]
	v_add_f64 v[212:213], v[102:103], -v[96:97]
	v_fma_f64 v[22:23], s[8:9], v[130:131], v[20:21]
	v_add_f64 v[154:155], v[86:87], v[82:83]
	v_fma_f64 v[20:21], v[130:131], s[8:9], -v[20:21]
	s_waitcnt vmcnt(1)
	v_mul_f64 v[26:27], v[30:31], v[36:37]
	v_fma_f64 v[112:113], v[28:29], v[38:39], -v[26:27]
	s_waitcnt vmcnt(0)
	v_mul_f64 v[90:91], v[34:35], v[42:43]
	v_mul_f64 v[26:27], v[34:35], v[40:41]
	v_mul_f64 v[94:95], v[30:31], v[38:39]
	v_fmac_f64_e32 v[90:91], v[32:33], v[40:41]
	v_fma_f64 v[106:107], v[32:33], v[42:43], -v[26:27]
	scratch_load_dwordx4 v[32:35], off, off offset:672 ; 16-byte Folded Reload
	v_fmac_f64_e32 v[94:95], v[28:29], v[36:37]
	scratch_load_dwordx4 v[36:39], off, off offset:864 ; 16-byte Folded Reload
	v_add_f64 v[162:163], v[94:95], -v[90:91]
	v_mul_f64 v[24:25], v[162:163], s[38:39]
	v_add_f64 v[134:135], v[112:113], v[106:107]
	v_add_f64 v[214:215], v[112:113], -v[106:107]
	v_fma_f64 v[26:27], s[28:29], v[134:135], v[24:25]
	v_add_f64 v[156:157], v[94:95], v[90:91]
	scratch_load_dwordx4 v[40:43], off, off offset:832 ; 16-byte Folded Reload
	s_waitcnt vmcnt(2)
	v_mul_f64 v[30:31], v[34:35], v[186:187]
	v_fma_f64 v[120:121], v[32:33], v[188:189], -v[30:31]
	s_waitcnt vmcnt(1)
	v_mul_f64 v[98:99], v[38:39], v[206:207]
	v_mul_f64 v[30:31], v[38:39], v[204:205]
	v_fmac_f64_e32 v[98:99], v[36:37], v[204:205]
	v_fma_f64 v[116:117], v[36:37], v[206:207], -v[30:31]
	scratch_load_dwordx4 v[36:39], off, off offset:656 ; 16-byte Folded Reload
	v_mul_f64 v[104:105], v[34:35], v[188:189]
	v_fmac_f64_e32 v[104:105], v[32:33], v[186:187]
	v_add_f64 v[164:165], v[104:105], -v[98:99]
	v_mul_f64 v[28:29], v[164:165], s[30:31]
	v_add_f64 v[138:139], v[120:121], v[116:117]
	v_add_f64 v[232:233], v[120:121], -v[116:117]
	v_fma_f64 v[30:31], s[0:1], v[138:139], v[28:29]
	v_add_f64 v[158:159], v[104:105], v[98:99]
	v_mul_f64 v[46:47], v[232:233], s[30:31]
	v_fma_f64 v[48:49], v[158:159], s[0:1], -v[46:47]
	v_fmac_f64_e32 v[46:47], s[0:1], v[158:159]
	v_mul_f64 v[54:55], v[232:233], s[40:41]
	v_fma_f64 v[168:169], v[158:159], s[12:13], -v[54:55]
	v_fmac_f64_e32 v[54:55], s[12:13], v[158:159]
	;; [unrolled: 3-line block ×4, first 2 shown]
	v_mul_f64 v[220:221], v[232:233], s[42:43]
	s_waitcnt vmcnt(1)
	v_mul_f64 v[108:109], v[42:43], v[202:203]
	v_fmac_f64_e32 v[108:109], v[40:41], v[200:201]
	s_waitcnt vmcnt(0)
	v_mul_f64 v[114:115], v[38:39], v[218:219]
	v_mul_f64 v[34:35], v[38:39], v[216:217]
	v_fmac_f64_e32 v[114:115], v[36:37], v[216:217]
	v_fma_f64 v[128:129], v[36:37], v[218:219], -v[34:35]
	v_mul_f64 v[34:35], v[42:43], v[200:201]
	v_add_f64 v[166:167], v[114:115], -v[108:109]
	v_fma_f64 v[122:123], v[40:41], v[202:203], -v[34:35]
	v_mul_f64 v[32:33], v[166:167], s[42:43]
	v_add_f64 v[142:143], v[128:129], v[122:123]
	v_add_f64 v[234:235], v[128:129], -v[122:123]
	v_fma_f64 v[34:35], s[36:37], v[142:143], v[32:33]
	v_add_f64 v[160:161], v[114:115], v[108:109]
	v_mul_f64 v[50:51], v[234:235], s[42:43]
	v_add_f64 v[34:35], v[2:3], v[34:35]
	v_fma_f64 v[52:53], v[160:161], s[36:37], -v[50:51]
	v_add_f64 v[30:31], v[30:31], v[34:35]
	v_mul_f64 v[42:43], v[214:215], s[38:39]
	v_add_f64 v[52:53], v[0:1], v[52:53]
	v_add_f64 v[26:27], v[26:27], v[30:31]
	v_mul_f64 v[38:39], v[212:213], s[46:47]
	v_fma_f64 v[44:45], v[156:157], s[28:29], -v[42:43]
	v_add_f64 v[48:49], v[48:49], v[52:53]
	v_add_f64 v[22:23], v[22:23], v[26:27]
	v_mul_f64 v[34:35], v[194:195], s[34:35]
	v_fma_f64 v[40:41], v[154:155], s[8:9], -v[38:39]
	;; [unrolled: 4-line block ×5, first 2 shown]
	v_add_f64 v[30:31], v[30:31], v[36:37]
	v_add_f64 v[6:7], v[4:5], v[6:7]
	v_fma_f64 v[4:5], v[144:145], s[16:17], -v[14:15]
	v_add_f64 v[22:23], v[22:23], v[30:31]
	v_add_f64 v[4:5], v[4:5], v[22:23]
	v_fma_f64 v[22:23], v[134:135], s[28:29], -v[24:25]
	v_fma_f64 v[24:25], v[138:139], s[0:1], -v[28:29]
	;; [unrolled: 1-line block ×3, first 2 shown]
	v_add_f64 v[28:29], v[2:3], v[28:29]
	v_add_f64 v[24:25], v[24:25], v[28:29]
	;; [unrolled: 1-line block ×7, first 2 shown]
	v_fmac_f64_e32 v[50:51], s[36:37], v[160:161]
	v_add_f64 v[10:11], v[8:9], v[10:11]
	v_add_f64 v[8:9], v[0:1], v[50:51]
	v_fmac_f64_e32 v[42:43], s[28:29], v[156:157]
	v_add_f64 v[8:9], v[46:47], v[8:9]
	v_mul_f64 v[40:41], v[166:167], s[38:39]
	v_fmac_f64_e32 v[38:39], s[8:9], v[154:155]
	v_add_f64 v[8:9], v[42:43], v[8:9]
	v_mul_f64 v[36:37], v[164:165], s[40:41]
	v_fma_f64 v[42:43], s[28:29], v[142:143], v[40:41]
	v_mul_f64 v[170:171], v[234:235], s[38:39]
	v_fmac_f64_e32 v[34:35], s[24:25], v[152:153]
	v_add_f64 v[8:9], v[38:39], v[8:9]
	v_mul_f64 v[32:33], v[162:163], s[22:23]
	v_fma_f64 v[38:39], s[12:13], v[138:139], v[36:37]
	v_add_f64 v[42:43], v[2:3], v[42:43]
	v_fma_f64 v[176:177], v[160:161], s[28:29], -v[170:171]
	v_add_f64 v[8:9], v[34:35], v[8:9]
	v_mul_f64 v[28:29], v[148:149], s[52:53]
	v_fma_f64 v[34:35], s[16:17], v[134:135], v[32:33]
	v_add_f64 v[38:39], v[38:39], v[42:43]
	v_mul_f64 v[50:51], v[214:215], s[22:23]
	v_add_f64 v[176:177], v[0:1], v[176:177]
	v_fmac_f64_e32 v[26:27], s[12:13], v[150:151]
	v_mul_f64 v[24:25], v[140:141], s[10:11]
	v_fma_f64 v[30:31], s[24:25], v[130:131], v[28:29]
	v_add_f64 v[34:35], v[34:35], v[38:39]
	v_mul_f64 v[46:47], v[212:213], s[52:53]
	v_fma_f64 v[52:53], v[156:157], s[16:17], -v[50:51]
	v_add_f64 v[168:169], v[168:169], v[176:177]
	v_fmac_f64_e32 v[18:19], s[20:21], v[146:147]
	v_add_f64 v[8:9], v[26:27], v[8:9]
	v_mul_f64 v[20:21], v[136:137], s[42:43]
	v_fma_f64 v[26:27], s[0:1], v[124:125], v[24:25]
	v_add_f64 v[30:31], v[30:31], v[34:35]
	v_mul_f64 v[42:43], v[194:195], s[10:11]
	v_fma_f64 v[48:49], v[154:155], s[24:25], -v[46:47]
	v_add_f64 v[52:53], v[52:53], v[168:169]
	v_fmac_f64_e32 v[14:15], s[16:17], v[144:145]
	v_add_f64 v[8:9], v[18:19], v[8:9]
	v_mul_f64 v[18:19], v[132:133], s[46:47]
	v_fma_f64 v[22:23], s[36:37], v[118:119], v[20:21]
	v_add_f64 v[26:27], v[26:27], v[30:31]
	v_mul_f64 v[34:35], v[192:193], s[42:43]
	v_fma_f64 v[44:45], v[152:153], s[0:1], -v[42:43]
	v_add_f64 v[48:49], v[48:49], v[52:53]
	v_add_f64 v[8:9], v[14:15], v[8:9]
	v_mul_f64 v[16:17], v[126:127], s[26:27]
	v_fma_f64 v[14:15], s[8:9], v[110:111], v[18:19]
	v_add_f64 v[22:23], v[22:23], v[26:27]
	v_mul_f64 v[26:27], v[174:175], s[46:47]
	v_fma_f64 v[38:39], v[150:151], s[36:37], -v[34:35]
	v_add_f64 v[44:45], v[44:45], v[48:49]
	v_fma_f64 v[12:13], s[20:21], v[100:101], v[16:17]
	v_add_f64 v[14:15], v[14:15], v[22:23]
	v_mul_f64 v[22:23], v[172:173], s[26:27]
	v_fma_f64 v[30:31], v[146:147], s[8:9], -v[26:27]
	v_add_f64 v[38:39], v[38:39], v[44:45]
	v_add_f64 v[14:15], v[12:13], v[14:15]
	v_fma_f64 v[12:13], v[144:145], s[20:21], -v[22:23]
	v_add_f64 v[30:31], v[30:31], v[38:39]
	v_add_f64 v[12:13], v[12:13], v[30:31]
	v_fma_f64 v[30:31], v[134:135], s[16:17], -v[32:33]
	v_fma_f64 v[32:33], v[138:139], s[12:13], -v[36:37]
	;; [unrolled: 1-line block ×3, first 2 shown]
	v_add_f64 v[36:37], v[2:3], v[36:37]
	v_add_f64 v[32:33], v[32:33], v[36:37]
	v_fma_f64 v[28:29], v[130:131], s[24:25], -v[28:29]
	v_add_f64 v[30:31], v[30:31], v[32:33]
	v_fma_f64 v[24:25], v[124:125], s[0:1], -v[24:25]
	;; [unrolled: 2-line block ×5, first 2 shown]
	v_add_f64 v[18:19], v[18:19], v[20:21]
	v_fmac_f64_e32 v[170:171], s[28:29], v[160:161]
	v_add_f64 v[18:19], v[16:17], v[18:19]
	v_add_f64 v[16:17], v[0:1], v[170:171]
	v_fmac_f64_e32 v[50:51], s[16:17], v[156:157]
	v_add_f64 v[16:17], v[54:55], v[16:17]
	v_mul_f64 v[48:49], v[166:167], s[34:35]
	v_fmac_f64_e32 v[46:47], s[24:25], v[154:155]
	v_add_f64 v[16:17], v[50:51], v[16:17]
	v_mul_f64 v[44:45], v[164:165], s[44:45]
	v_fma_f64 v[50:51], s[24:25], v[142:143], v[48:49]
	v_mul_f64 v[184:185], v[234:235], s[34:35]
	v_fmac_f64_e32 v[42:43], s[0:1], v[152:153]
	v_add_f64 v[16:17], v[46:47], v[16:17]
	v_mul_f64 v[40:41], v[162:163], s[10:11]
	v_fma_f64 v[46:47], s[20:21], v[138:139], v[44:45]
	v_add_f64 v[50:51], v[2:3], v[50:51]
	v_fma_f64 v[196:197], v[160:161], s[24:25], -v[184:185]
	v_add_f64 v[16:17], v[42:43], v[16:17]
	v_mul_f64 v[36:37], v[148:149], s[38:39]
	v_fma_f64 v[42:43], s[0:1], v[134:135], v[40:41]
	v_add_f64 v[46:47], v[46:47], v[50:51]
	v_mul_f64 v[170:171], v[214:215], s[10:11]
	v_add_f64 v[196:197], v[0:1], v[196:197]
	v_fmac_f64_e32 v[34:35], s[36:37], v[150:151]
	v_mul_f64 v[32:33], v[140:141], s[54:55]
	v_fma_f64 v[38:39], s[28:29], v[130:131], v[36:37]
	v_add_f64 v[42:43], v[42:43], v[46:47]
	v_mul_f64 v[54:55], v[212:213], s[38:39]
	v_fma_f64 v[176:177], v[156:157], s[0:1], -v[170:171]
	v_add_f64 v[182:183], v[182:183], v[196:197]
	v_fmac_f64_e32 v[26:27], s[8:9], v[146:147]
	v_add_f64 v[16:17], v[34:35], v[16:17]
	v_mul_f64 v[28:29], v[136:137], s[14:15]
	v_fma_f64 v[34:35], s[16:17], v[124:125], v[32:33]
	v_add_f64 v[38:39], v[38:39], v[42:43]
	v_mul_f64 v[50:51], v[194:195], s[54:55]
	v_fma_f64 v[168:169], v[154:155], s[28:29], -v[54:55]
	v_add_f64 v[176:177], v[176:177], v[182:183]
	v_fmac_f64_e32 v[22:23], s[20:21], v[144:145]
	v_add_f64 v[16:17], v[26:27], v[16:17]
	v_mul_f64 v[26:27], v[132:133], s[42:43]
	v_fma_f64 v[30:31], s[8:9], v[118:119], v[28:29]
	v_add_f64 v[34:35], v[34:35], v[38:39]
	v_mul_f64 v[42:43], v[192:193], s[14:15]
	v_fma_f64 v[52:53], v[152:153], s[16:17], -v[50:51]
	v_add_f64 v[168:169], v[168:169], v[176:177]
	v_add_f64 v[16:17], v[22:23], v[16:17]
	v_mul_f64 v[24:25], v[126:127], s[40:41]
	v_fma_f64 v[22:23], s[36:37], v[110:111], v[26:27]
	v_add_f64 v[30:31], v[30:31], v[34:35]
	v_mul_f64 v[34:35], v[174:175], s[42:43]
	v_fma_f64 v[46:47], v[150:151], s[8:9], -v[42:43]
	v_add_f64 v[52:53], v[52:53], v[168:169]
	v_fma_f64 v[20:21], s[12:13], v[100:101], v[24:25]
	v_add_f64 v[22:23], v[22:23], v[30:31]
	v_mul_f64 v[30:31], v[172:173], s[40:41]
	v_fma_f64 v[38:39], v[146:147], s[36:37], -v[34:35]
	v_add_f64 v[46:47], v[46:47], v[52:53]
	v_add_f64 v[22:23], v[20:21], v[22:23]
	v_fma_f64 v[20:21], v[144:145], s[12:13], -v[30:31]
	v_add_f64 v[38:39], v[38:39], v[46:47]
	v_add_f64 v[20:21], v[20:21], v[38:39]
	v_fma_f64 v[38:39], v[134:135], s[0:1], -v[40:41]
	v_fma_f64 v[40:41], v[138:139], s[20:21], -v[44:45]
	v_fma_f64 v[44:45], v[142:143], s[24:25], -v[48:49]
	v_add_f64 v[44:45], v[2:3], v[44:45]
	v_add_f64 v[40:41], v[40:41], v[44:45]
	v_fma_f64 v[36:37], v[130:131], s[28:29], -v[36:37]
	v_add_f64 v[38:39], v[38:39], v[40:41]
	v_fma_f64 v[32:33], v[124:125], s[16:17], -v[32:33]
	;; [unrolled: 2-line block ×5, first 2 shown]
	v_add_f64 v[26:27], v[26:27], v[28:29]
	v_fmac_f64_e32 v[184:185], s[24:25], v[160:161]
	v_add_f64 v[26:27], v[24:25], v[26:27]
	v_add_f64 v[24:25], v[0:1], v[184:185]
	v_fmac_f64_e32 v[170:171], s[0:1], v[156:157]
	v_add_f64 v[24:25], v[178:179], v[24:25]
	v_mul_f64 v[168:169], v[166:167], s[26:27]
	v_fmac_f64_e32 v[54:55], s[28:29], v[154:155]
	v_add_f64 v[24:25], v[170:171], v[24:25]
	v_mul_f64 v[52:53], v[164:165], s[48:49]
	v_fma_f64 v[170:171], s[20:21], v[142:143], v[168:169]
	v_mul_f64 v[254:255], v[234:235], s[26:27]
	v_fmac_f64_e32 v[50:51], s[16:17], v[152:153]
	v_add_f64 v[24:25], v[54:55], v[24:25]
	v_mul_f64 v[48:49], v[162:163], s[46:47]
	v_fma_f64 v[54:55], s[28:29], v[138:139], v[52:53]
	v_add_f64 v[170:171], v[2:3], v[170:171]
	v_fma_f64 v[190:191], v[160:161], s[20:21], -v[254:255]
	v_add_f64 v[24:25], v[50:51], v[24:25]
	v_mul_f64 v[44:45], v[148:149], s[18:19]
	v_fma_f64 v[50:51], s[8:9], v[134:135], v[48:49]
	v_add_f64 v[54:55], v[54:55], v[170:171]
	v_mul_f64 v[184:185], v[214:215], s[46:47]
	v_add_f64 v[190:191], v[0:1], v[190:191]
	v_fmac_f64_e32 v[42:43], s[8:9], v[150:151]
	v_mul_f64 v[40:41], v[140:141], s[42:43]
	v_fma_f64 v[46:47], s[12:13], v[130:131], v[44:45]
	v_add_f64 v[50:51], v[50:51], v[54:55]
	v_mul_f64 v[178:179], v[212:213], s[18:19]
	v_fma_f64 v[196:197], v[156:157], s[8:9], -v[184:185]
	v_add_f64 v[190:191], v[252:253], v[190:191]
	v_fmac_f64_e32 v[34:35], s[36:37], v[146:147]
	v_add_f64 v[24:25], v[42:43], v[24:25]
	v_mul_f64 v[36:37], v[136:137], s[54:55]
	v_fma_f64 v[42:43], s[36:37], v[124:125], v[40:41]
	v_add_f64 v[46:47], v[46:47], v[50:51]
	v_mul_f64 v[170:171], v[194:195], s[42:43]
	v_fma_f64 v[182:183], v[154:155], s[12:13], -v[178:179]
	v_add_f64 v[190:191], v[196:197], v[190:191]
	v_fmac_f64_e32 v[30:31], s[12:13], v[144:145]
	v_add_f64 v[24:25], v[34:35], v[24:25]
	v_mul_f64 v[34:35], v[132:133], s[10:11]
	v_fma_f64 v[38:39], s[16:17], v[118:119], v[36:37]
	v_add_f64 v[42:43], v[42:43], v[46:47]
	v_mul_f64 v[50:51], v[192:193], s[54:55]
	v_fma_f64 v[176:177], v[152:153], s[36:37], -v[170:171]
	v_add_f64 v[182:183], v[182:183], v[190:191]
	v_add_f64 v[24:25], v[30:31], v[24:25]
	v_mul_f64 v[32:33], v[126:127], s[34:35]
	v_fma_f64 v[30:31], s[0:1], v[110:111], v[34:35]
	v_add_f64 v[38:39], v[38:39], v[42:43]
	v_mul_f64 v[42:43], v[174:175], s[10:11]
	v_fma_f64 v[54:55], v[150:151], s[16:17], -v[50:51]
	v_add_f64 v[176:177], v[176:177], v[182:183]
	v_fma_f64 v[28:29], s[24:25], v[100:101], v[32:33]
	v_add_f64 v[30:31], v[30:31], v[38:39]
	v_mul_f64 v[38:39], v[172:173], s[34:35]
	v_fma_f64 v[46:47], v[146:147], s[0:1], -v[42:43]
	v_add_f64 v[54:55], v[54:55], v[176:177]
	v_add_f64 v[30:31], v[28:29], v[30:31]
	v_fma_f64 v[28:29], v[144:145], s[24:25], -v[38:39]
	v_add_f64 v[46:47], v[46:47], v[54:55]
	v_add_f64 v[28:29], v[28:29], v[46:47]
	v_fma_f64 v[46:47], v[134:135], s[8:9], -v[48:49]
	v_fma_f64 v[48:49], v[138:139], s[28:29], -v[52:53]
	;; [unrolled: 1-line block ×3, first 2 shown]
	v_add_f64 v[52:53], v[2:3], v[52:53]
	v_add_f64 v[48:49], v[48:49], v[52:53]
	v_fma_f64 v[44:45], v[130:131], s[12:13], -v[44:45]
	v_add_f64 v[46:47], v[46:47], v[48:49]
	v_fma_f64 v[40:41], v[124:125], s[36:37], -v[40:41]
	;; [unrolled: 2-line block ×5, first 2 shown]
	v_add_f64 v[34:35], v[34:35], v[36:37]
	v_fmac_f64_e32 v[254:255], s[20:21], v[160:161]
	v_add_f64 v[34:35], v[32:33], v[34:35]
	v_add_f64 v[32:33], v[0:1], v[254:255]
	v_fmac_f64_e32 v[184:185], s[8:9], v[156:157]
	v_add_f64 v[32:33], v[198:199], v[32:33]
	v_mul_f64 v[182:183], v[166:167], s[22:23]
	v_fmac_f64_e32 v[178:179], s[12:13], v[154:155]
	v_add_f64 v[32:33], v[184:185], v[32:33]
	v_mul_f64 v[176:177], v[164:165], s[42:43]
	v_fma_f64 v[184:185], s[16:17], v[142:143], v[182:183]
	v_mul_f64 v[202:203], v[234:235], s[22:23]
	v_fmac_f64_e32 v[170:171], s[36:37], v[152:153]
	v_add_f64 v[32:33], v[178:179], v[32:33]
	v_mul_f64 v[168:169], v[162:163], s[44:45]
	v_fma_f64 v[178:179], s[36:37], v[138:139], v[176:177]
	v_add_f64 v[184:185], v[2:3], v[184:185]
	v_fma_f64 v[204:205], v[160:161], s[16:17], -v[202:203]
	v_add_f64 v[32:33], v[170:171], v[32:33]
	v_mul_f64 v[52:53], v[148:149], s[30:31]
	v_fma_f64 v[170:171], s[20:21], v[134:135], v[168:169]
	v_add_f64 v[178:179], v[178:179], v[184:185]
	v_mul_f64 v[252:253], v[214:215], s[44:45]
	v_fma_f64 v[200:201], v[158:159], s[36:37], -v[220:221]
	v_add_f64 v[204:205], v[0:1], v[204:205]
	v_fmac_f64_e32 v[50:51], s[16:17], v[150:151]
	v_mul_f64 v[48:49], v[140:141], s[18:19]
	v_fma_f64 v[54:55], s[0:1], v[130:131], v[52:53]
	v_add_f64 v[170:171], v[170:171], v[178:179]
	v_mul_f64 v[196:197], v[212:213], s[30:31]
	v_fma_f64 v[254:255], v[156:157], s[20:21], -v[252:253]
	v_add_f64 v[200:201], v[200:201], v[204:205]
	v_fmac_f64_e32 v[42:43], s[0:1], v[146:147]
	v_add_f64 v[32:33], v[50:51], v[32:33]
	v_mul_f64 v[44:45], v[136:137], s[38:39]
	v_fma_f64 v[50:51], s[12:13], v[124:125], v[48:49]
	v_add_f64 v[54:55], v[54:55], v[170:171]
	v_mul_f64 v[184:185], v[194:195], s[18:19]
	v_fma_f64 v[198:199], v[154:155], s[0:1], -v[196:197]
	v_add_f64 v[200:201], v[254:255], v[200:201]
	v_fmac_f64_e32 v[38:39], s[24:25], v[144:145]
	v_add_f64 v[32:33], v[42:43], v[32:33]
	v_mul_f64 v[42:43], v[132:133], s[52:53]
	v_fma_f64 v[46:47], s[28:29], v[118:119], v[44:45]
	v_add_f64 v[50:51], v[50:51], v[54:55]
	v_mul_f64 v[170:171], v[192:193], s[38:39]
	v_fma_f64 v[190:191], v[152:153], s[12:13], -v[184:185]
	v_add_f64 v[198:199], v[198:199], v[200:201]
	v_add_f64 v[32:33], v[38:39], v[32:33]
	v_mul_f64 v[40:41], v[126:127], s[46:47]
	v_fma_f64 v[38:39], s[24:25], v[110:111], v[42:43]
	v_add_f64 v[46:47], v[46:47], v[50:51]
	v_mul_f64 v[50:51], v[174:175], s[52:53]
	v_fma_f64 v[178:179], v[150:151], s[28:29], -v[170:171]
	v_add_f64 v[190:191], v[190:191], v[198:199]
	v_fma_f64 v[36:37], s[8:9], v[100:101], v[40:41]
	v_add_f64 v[38:39], v[38:39], v[46:47]
	v_mul_f64 v[46:47], v[172:173], s[46:47]
	v_fma_f64 v[54:55], v[146:147], s[24:25], -v[50:51]
	v_add_f64 v[178:179], v[178:179], v[190:191]
	v_add_f64 v[38:39], v[36:37], v[38:39]
	v_fma_f64 v[36:37], v[144:145], s[8:9], -v[46:47]
	v_add_f64 v[54:55], v[54:55], v[178:179]
	v_add_f64 v[36:37], v[36:37], v[54:55]
	v_fma_f64 v[54:55], v[134:135], s[20:21], -v[168:169]
	v_fma_f64 v[168:169], v[138:139], s[36:37], -v[176:177]
	;; [unrolled: 1-line block ×3, first 2 shown]
	v_add_f64 v[176:177], v[2:3], v[176:177]
	v_add_f64 v[168:169], v[168:169], v[176:177]
	v_fma_f64 v[52:53], v[130:131], s[0:1], -v[52:53]
	v_add_f64 v[54:55], v[54:55], v[168:169]
	v_fma_f64 v[48:49], v[124:125], s[12:13], -v[48:49]
	v_add_f64 v[52:53], v[52:53], v[54:55]
	v_fma_f64 v[44:45], v[118:119], s[28:29], -v[44:45]
	v_add_f64 v[48:49], v[48:49], v[52:53]
	v_fma_f64 v[42:43], v[110:111], s[24:25], -v[42:43]
	v_add_f64 v[44:45], v[44:45], v[48:49]
	v_fma_f64 v[40:41], v[100:101], s[8:9], -v[40:41]
	v_add_f64 v[42:43], v[42:43], v[44:45]
	v_fmac_f64_e32 v[202:203], s[16:17], v[160:161]
	v_add_f64 v[42:43], v[40:41], v[42:43]
	v_fmac_f64_e32 v[220:221], s[36:37], v[158:159]
	;; [unrolled: 2-line block ×3, first 2 shown]
	v_add_f64 v[40:41], v[220:221], v[40:41]
	v_mul_f64 v[198:199], v[166:167], s[18:19]
	v_fmac_f64_e32 v[196:197], s[0:1], v[154:155]
	v_add_f64 v[40:41], v[252:253], v[40:41]
	v_mul_f64 v[190:191], v[164:165], s[34:35]
	v_fma_f64 v[200:201], s[12:13], v[142:143], v[198:199]
	v_mul_f64 v[210:211], v[234:235], s[18:19]
	v_fmac_f64_e32 v[184:185], s[12:13], v[152:153]
	v_add_f64 v[40:41], v[196:197], v[40:41]
	v_mul_f64 v[182:183], v[162:163], s[50:51]
	v_fma_f64 v[196:197], s[24:25], v[138:139], v[190:191]
	v_add_f64 v[200:201], v[2:3], v[200:201]
	v_mul_f64 v[254:255], v[232:233], s[34:35]
	v_fma_f64 v[216:217], v[160:161], s[12:13], -v[210:211]
	v_add_f64 v[40:41], v[184:185], v[40:41]
	v_mul_f64 v[176:177], v[148:149], s[44:45]
	v_fma_f64 v[184:185], s[36:37], v[134:135], v[182:183]
	v_add_f64 v[196:197], v[196:197], v[200:201]
	v_mul_f64 v[220:221], v[214:215], s[50:51]
	v_fma_f64 v[208:209], v[158:159], s[24:25], -v[254:255]
	v_add_f64 v[216:217], v[0:1], v[216:217]
	v_fmac_f64_e32 v[170:171], s[28:29], v[150:151]
	v_mul_f64 v[168:169], v[140:141], s[46:47]
	v_fma_f64 v[178:179], s[20:21], v[130:131], v[176:177]
	v_add_f64 v[184:185], v[184:185], v[196:197]
	v_mul_f64 v[204:205], v[212:213], s[44:45]
	v_fma_f64 v[252:253], v[156:157], s[36:37], -v[220:221]
	v_add_f64 v[208:209], v[208:209], v[216:217]
	v_fmac_f64_e32 v[50:51], s[24:25], v[146:147]
	v_add_f64 v[40:41], v[170:171], v[40:41]
	v_mul_f64 v[52:53], v[136:137], s[10:11]
	v_fma_f64 v[170:171], s[8:9], v[124:125], v[168:169]
	v_add_f64 v[178:179], v[178:179], v[184:185]
	v_mul_f64 v[200:201], v[194:195], s[46:47]
	v_fma_f64 v[206:207], v[154:155], s[20:21], -v[204:205]
	v_add_f64 v[208:209], v[252:253], v[208:209]
	v_fmac_f64_e32 v[46:47], s[8:9], v[144:145]
	v_add_f64 v[40:41], v[50:51], v[40:41]
	v_mul_f64 v[50:51], v[132:133], s[22:23]
	v_fma_f64 v[54:55], s[0:1], v[118:119], v[52:53]
	v_add_f64 v[170:171], v[170:171], v[178:179]
	v_mul_f64 v[184:185], v[192:193], s[10:11]
	v_fma_f64 v[202:203], v[152:153], s[8:9], -v[200:201]
	v_add_f64 v[206:207], v[206:207], v[208:209]
	v_add_f64 v[40:41], v[46:47], v[40:41]
	v_mul_f64 v[48:49], v[126:127], s[38:39]
	v_fma_f64 v[46:47], s[16:17], v[110:111], v[50:51]
	v_add_f64 v[54:55], v[54:55], v[170:171]
	v_mul_f64 v[178:179], v[174:175], s[22:23]
	v_fma_f64 v[196:197], v[150:151], s[0:1], -v[184:185]
	v_add_f64 v[202:203], v[202:203], v[206:207]
	v_fma_f64 v[44:45], s[28:29], v[100:101], v[48:49]
	v_add_f64 v[46:47], v[46:47], v[54:55]
	v_mul_f64 v[170:171], v[172:173], s[38:39]
	v_fma_f64 v[54:55], v[146:147], s[16:17], -v[178:179]
	v_add_f64 v[196:197], v[196:197], v[202:203]
	v_add_f64 v[46:47], v[44:45], v[46:47]
	v_fma_f64 v[44:45], v[144:145], s[28:29], -v[170:171]
	v_add_f64 v[54:55], v[54:55], v[196:197]
	v_add_f64 v[44:45], v[44:45], v[54:55]
	v_fma_f64 v[54:55], v[124:125], s[8:9], -v[168:169]
	v_fma_f64 v[168:169], v[130:131], s[20:21], -v[176:177]
	;; [unrolled: 1-line block ×5, first 2 shown]
	v_add_f64 v[190:191], v[2:3], v[190:191]
	v_add_f64 v[182:183], v[182:183], v[190:191]
	;; [unrolled: 1-line block ×4, first 2 shown]
	v_fma_f64 v[52:53], v[118:119], s[0:1], -v[52:53]
	v_add_f64 v[54:55], v[54:55], v[168:169]
	v_fma_f64 v[50:51], v[110:111], s[16:17], -v[50:51]
	v_add_f64 v[52:53], v[52:53], v[54:55]
	;; [unrolled: 2-line block ×3, first 2 shown]
	v_fmac_f64_e32 v[210:211], s[12:13], v[160:161]
	v_add_f64 v[54:55], v[48:49], v[50:51]
	v_fmac_f64_e32 v[254:255], s[24:25], v[158:159]
	v_add_f64 v[48:49], v[0:1], v[210:211]
	;; [unrolled: 2-line block ×3, first 2 shown]
	v_mul_f64 v[206:207], v[166:167], s[14:15]
	v_fmac_f64_e32 v[204:205], s[20:21], v[154:155]
	v_add_f64 v[48:49], v[220:221], v[48:49]
	v_mul_f64 v[202:203], v[164:165], s[22:23]
	v_fma_f64 v[208:209], s[8:9], v[142:143], v[206:207]
	v_mul_f64 v[188:189], v[234:235], s[14:15]
	v_fmac_f64_e32 v[200:201], s[8:9], v[152:153]
	v_add_f64 v[48:49], v[204:205], v[48:49]
	v_mul_f64 v[198:199], v[162:163], s[34:35]
	v_fma_f64 v[204:205], s[16:17], v[138:139], v[202:203]
	v_add_f64 v[208:209], v[2:3], v[208:209]
	v_mul_f64 v[254:255], v[232:233], s[22:23]
	v_fma_f64 v[224:225], v[160:161], s[8:9], -v[188:189]
	v_fmac_f64_e32 v[184:185], s[0:1], v[150:151]
	v_add_f64 v[48:49], v[200:201], v[48:49]
	v_mul_f64 v[190:191], v[148:149], s[42:43]
	v_fma_f64 v[200:201], s[24:25], v[134:135], v[198:199]
	v_add_f64 v[204:205], v[204:205], v[208:209]
	v_mul_f64 v[220:221], v[214:215], s[34:35]
	v_fma_f64 v[186:187], v[158:159], s[16:17], -v[254:255]
	v_add_f64 v[224:225], v[0:1], v[224:225]
	v_fmac_f64_e32 v[178:179], s[16:17], v[146:147]
	v_add_f64 v[48:49], v[184:185], v[48:49]
	v_mul_f64 v[182:183], v[140:141], s[48:49]
	v_fma_f64 v[196:197], s[36:37], v[130:131], v[190:191]
	v_add_f64 v[200:201], v[200:201], v[204:205]
	v_mul_f64 v[216:217], v[212:213], s[42:43]
	v_fma_f64 v[252:253], v[156:157], s[24:25], -v[220:221]
	v_add_f64 v[186:187], v[186:187], v[224:225]
	;; [unrolled: 8-line block ×3, first 2 shown]
	v_add_f64 v[52:53], v[170:171], v[48:49]
	v_mul_f64 v[170:171], v[132:133], s[40:41]
	v_fma_f64 v[178:179], s[20:21], v[118:119], v[176:177]
	v_add_f64 v[184:185], v[184:185], v[196:197]
	v_mul_f64 v[200:201], v[192:193], s[44:45]
	v_fma_f64 v[210:211], v[152:153], s[28:29], -v[208:209]
	v_add_f64 v[186:187], v[218:219], v[186:187]
	v_mul_f64 v[168:169], v[126:127], s[30:31]
	v_fma_f64 v[50:51], s[12:13], v[110:111], v[170:171]
	v_add_f64 v[178:179], v[178:179], v[184:185]
	v_mul_f64 v[184:185], v[174:175], s[40:41]
	v_fma_f64 v[204:205], v[150:151], s[20:21], -v[200:201]
	v_add_f64 v[186:187], v[210:211], v[186:187]
	v_fma_f64 v[48:49], s[0:1], v[100:101], v[168:169]
	v_add_f64 v[50:51], v[50:51], v[178:179]
	v_mul_f64 v[178:179], v[172:173], s[30:31]
	v_fma_f64 v[196:197], v[146:147], s[12:13], -v[184:185]
	v_add_f64 v[186:187], v[204:205], v[186:187]
	v_add_f64 v[50:51], v[48:49], v[50:51]
	v_fma_f64 v[48:49], v[144:145], s[0:1], -v[178:179]
	v_add_f64 v[186:187], v[196:197], v[186:187]
	v_add_f64 v[48:49], v[48:49], v[186:187]
	v_fma_f64 v[186:187], v[130:131], s[36:37], -v[190:191]
	v_fma_f64 v[190:191], v[134:135], s[24:25], -v[198:199]
	;; [unrolled: 1-line block ×4, first 2 shown]
	v_add_f64 v[198:199], v[2:3], v[198:199]
	v_add_f64 v[196:197], v[196:197], v[198:199]
	;; [unrolled: 1-line block ×3, first 2 shown]
	v_fma_f64 v[182:183], v[124:125], s[28:29], -v[182:183]
	v_add_f64 v[186:187], v[186:187], v[190:191]
	v_fma_f64 v[176:177], v[118:119], s[20:21], -v[176:177]
	v_add_f64 v[182:183], v[182:183], v[186:187]
	;; [unrolled: 2-line block ×4, first 2 shown]
	v_fmac_f64_e32 v[188:189], s[8:9], v[160:161]
	v_add_f64 v[170:171], v[168:169], v[170:171]
	v_fmac_f64_e32 v[254:255], s[16:17], v[158:159]
	v_add_f64 v[168:169], v[0:1], v[188:189]
	;; [unrolled: 2-line block ×7, first 2 shown]
	v_mul_f64 v[126:127], v[126:127], s[42:43]
	v_mul_f64 v[148:149], v[148:149], s[22:23]
	;; [unrolled: 1-line block ×4, first 2 shown]
	v_fmac_f64_e32 v[178:179], s[0:1], v[144:145]
	v_add_f64 v[168:169], v[184:185], v[168:169]
	v_fma_f64 v[176:177], s[36:37], v[100:101], v[126:127]
	v_mul_f64 v[132:133], v[132:133], s[38:39]
	v_fma_f64 v[186:187], s[16:17], v[130:131], v[148:149]
	v_fma_f64 v[162:163], s[12:13], v[134:135], v[188:189]
	v_mul_f64 v[190:191], v[164:165], s[14:15]
	v_fma_f64 v[100:101], v[100:101], s[36:37], -v[126:127]
	v_fma_f64 v[126:127], v[130:131], s[16:17], -v[148:149]
	;; [unrolled: 1-line block ×4, first 2 shown]
	v_add_f64 v[168:169], v[178:179], v[168:169]
	v_fma_f64 v[178:179], s[28:29], v[110:111], v[132:133]
	v_fma_f64 v[110:111], v[110:111], s[28:29], -v[132:133]
	v_fma_f64 v[132:133], v[138:139], s[8:9], -v[190:191]
	v_add_f64 v[134:135], v[2:3], v[134:135]
	v_add_f64 v[132:133], v[132:133], v[134:135]
	v_mul_f64 v[140:141], v[140:141], s[26:27]
	v_add_f64 v[130:131], v[130:131], v[132:133]
	v_mul_f64 v[136:137], v[136:137], s[34:35]
	v_fma_f64 v[184:185], s[20:21], v[124:125], v[140:141]
	v_fma_f64 v[124:125], v[124:125], s[20:21], -v[140:141]
	v_add_f64 v[126:127], v[126:127], v[130:131]
	v_fma_f64 v[182:183], s[24:25], v[118:119], v[136:137]
	v_fma_f64 v[118:119], v[118:119], s[24:25], -v[136:137]
	v_add_f64 v[124:125], v[124:125], v[126:127]
	v_mul_f64 v[204:205], v[234:235], s[10:11]
	v_add_f64 v[118:119], v[118:119], v[124:125]
	v_fma_f64 v[206:207], v[160:161], s[0:1], -v[204:205]
	v_add_f64 v[110:111], v[110:111], v[118:119]
	v_fmac_f64_e32 v[204:205], s[0:1], v[160:161]
	v_add_f64 v[206:207], v[0:1], v[206:207]
	v_add_f64 v[126:127], v[100:101], v[110:111]
	v_add_f64 v[100:101], v[0:1], v[204:205]
	v_add_f64 v[0:1], v[0:1], v[114:115]
	v_add_f64 v[0:1], v[0:1], v[104:105]
	v_add_f64 v[0:1], v[0:1], v[94:95]
	v_add_f64 v[0:1], v[0:1], v[86:87]
	v_add_f64 v[0:1], v[0:1], v[78:79]
	v_add_f64 v[0:1], v[0:1], v[70:71]
	v_add_f64 v[0:1], v[0:1], v[60:61]
	v_add_f64 v[0:1], v[0:1], v[56:57]
	scratch_load_dword v56, off, off offset:84 ; 4-byte Folded Reload
	v_fma_f64 v[196:197], s[0:1], v[142:143], v[166:167]
	v_add_f64 v[196:197], v[2:3], v[196:197]
	v_add_f64 v[2:3], v[2:3], v[128:129]
	;; [unrolled: 1-line block ×5, first 2 shown]
	v_fma_f64 v[164:165], s[8:9], v[138:139], v[190:191]
	v_add_f64 v[2:3], v[2:3], v[92:93]
	v_add_f64 v[164:165], v[164:165], v[196:197]
	v_add_f64 v[2:3], v[2:3], v[84:85]
	v_add_f64 v[162:163], v[162:163], v[164:165]
	v_add_f64 v[2:3], v[2:3], v[76:77]
	v_add_f64 v[162:163], v[186:187], v[162:163]
	v_add_f64 v[2:3], v[2:3], v[64:65]
	v_add_f64 v[162:163], v[184:185], v[162:163]
	v_mul_f64 v[200:201], v[232:233], s[14:15]
	v_add_f64 v[2:3], v[2:3], v[66:67]
	v_add_f64 v[0:1], v[0:1], v[58:59]
	;; [unrolled: 1-line block ×3, first 2 shown]
	v_mul_f64 v[196:197], v[214:215], s[18:19]
	v_fma_f64 v[202:203], v[158:159], s[8:9], -v[200:201]
	v_fmac_f64_e32 v[200:201], s[8:9], v[158:159]
	v_add_f64 v[2:3], v[2:3], v[72:73]
	v_add_f64 v[0:1], v[0:1], v[62:63]
	;; [unrolled: 1-line block ×3, first 2 shown]
	v_mul_f64 v[178:179], v[192:193], s[34:35]
	v_mul_f64 v[192:193], v[212:213], s[22:23]
	v_fma_f64 v[198:199], v[156:157], s[12:13], -v[196:197]
	v_add_f64 v[202:203], v[202:203], v[206:207]
	v_fmac_f64_e32 v[196:197], s[12:13], v[156:157]
	v_add_f64 v[100:101], v[200:201], v[100:101]
	v_add_f64 v[2:3], v[2:3], v[80:81]
	;; [unrolled: 1-line block ×3, first 2 shown]
	v_mul_f64 v[184:185], v[194:195], s[26:27]
	v_fma_f64 v[194:195], v[154:155], s[16:17], -v[192:193]
	v_add_f64 v[198:199], v[198:199], v[202:203]
	v_fmac_f64_e32 v[192:193], s[16:17], v[154:155]
	v_add_f64 v[100:101], v[196:197], v[100:101]
	v_add_f64 v[2:3], v[2:3], v[88:89]
	;; [unrolled: 1-line block ×3, first 2 shown]
	v_fma_f64 v[186:187], v[152:153], s[20:21], -v[184:185]
	v_add_f64 v[194:195], v[194:195], v[198:199]
	v_fmac_f64_e32 v[184:185], s[20:21], v[152:153]
	v_add_f64 v[100:101], v[192:193], v[100:101]
	v_add_f64 v[2:3], v[2:3], v[96:97]
	;; [unrolled: 1-line block ×3, first 2 shown]
	v_mul_f64 v[174:175], v[174:175], s[38:39]
	v_fma_f64 v[182:183], v[150:151], s[24:25], -v[178:179]
	v_add_f64 v[186:187], v[186:187], v[194:195]
	v_fmac_f64_e32 v[178:179], s[24:25], v[150:151]
	v_add_f64 v[100:101], v[184:185], v[100:101]
	v_add_f64 v[2:3], v[2:3], v[106:107]
	;; [unrolled: 1-line block ×4, first 2 shown]
	v_mul_f64 v[172:173], v[172:173], s[42:43]
	v_fma_f64 v[176:177], v[146:147], s[28:29], -v[174:175]
	v_add_f64 v[182:183], v[182:183], v[186:187]
	v_fmac_f64_e32 v[174:175], s[28:29], v[146:147]
	v_add_f64 v[100:101], v[178:179], v[100:101]
	v_add_f64 v[2:3], v[2:3], v[116:117]
	;; [unrolled: 1-line block ×3, first 2 shown]
	v_accvgpr_read_b32 v210, a6
	v_accvgpr_read_b32 v209, a5
	v_fma_f64 v[162:163], v[144:145], s[36:37], -v[172:173]
	v_add_f64 v[176:177], v[176:177], v[182:183]
	v_accvgpr_read_b32 v191, a4
	v_fmac_f64_e32 v[172:173], s[36:37], v[144:145]
	v_add_f64 v[100:101], v[174:175], v[100:101]
	v_add_f64 v[2:3], v[2:3], v[122:123]
	;; [unrolled: 1-line block ×5, first 2 shown]
	s_waitcnt vmcnt(0)
	v_and_b32_e32 v56, 0xff, v56
	v_lshl_add_u32 v56, v56, 4, v227
	ds_write_b128 v56, v[0:3] offset:7616
	ds_write_b128 v56, v[124:127] offset:7728
	;; [unrolled: 1-line block ×17, first 2 shown]
.LBB0_9:
	s_or_b64 exec, exec, s[56:57]
	s_waitcnt lgkmcnt(0)
	; wave barrier
	s_waitcnt lgkmcnt(0)
	ds_read_b128 v[4:7], v222 offset:1904
	ds_read_b128 v[0:3], v222 offset:1632
	v_accvgpr_read_b32 v8, a100
	v_accvgpr_read_b32 v10, a102
	v_accvgpr_read_b32 v11, a103
	v_accvgpr_read_b32 v9, a101
	s_waitcnt lgkmcnt(1)
	v_mul_f64 v[126:127], v[10:11], v[6:7]
	v_fmac_f64_e32 v[126:127], v[8:9], v[4:5]
	v_mul_f64 v[4:5], v[10:11], v[4:5]
	v_fma_f64 v[124:125], v[8:9], v[6:7], -v[4:5]
	ds_read_b128 v[4:7], v222 offset:3808
	ds_read_b128 v[8:11], v222 offset:4080
	v_accvgpr_read_b32 v15, a3
	v_accvgpr_read_b32 v14, a2
	v_accvgpr_read_b32 v13, a1
	v_accvgpr_read_b32 v12, a0
	s_waitcnt lgkmcnt(1)
	v_mul_f64 v[130:131], v[14:15], v[6:7]
	v_fmac_f64_e32 v[130:131], v[12:13], v[4:5]
	v_mul_f64 v[4:5], v[14:15], v[4:5]
	v_fma_f64 v[128:129], v[12:13], v[6:7], -v[4:5]
	;; [unrolled: 11-line block ×5, first 2 shown]
	v_accvgpr_read_b32 v24, a42
	v_accvgpr_read_b32 v26, a44
	v_accvgpr_read_b32 v27, a45
	v_accvgpr_read_b32 v25, a43
	v_mul_f64 v[84:85], v[26:27], v[10:11]
	v_mul_f64 v[4:5], v[26:27], v[8:9]
	v_fmac_f64_e32 v[84:85], v[24:25], v[8:9]
	v_fma_f64 v[82:83], v[24:25], v[10:11], -v[4:5]
	ds_read_b128 v[4:7], v222 offset:5984
	ds_read_b128 v[8:11], v222 offset:6256
	v_accvgpr_read_b32 v24, a108
	v_accvgpr_read_b32 v26, a110
	;; [unrolled: 1-line block ×4, first 2 shown]
	s_waitcnt lgkmcnt(1)
	v_mul_f64 v[118:119], v[26:27], v[6:7]
	v_fmac_f64_e32 v[118:119], v[24:25], v[4:5]
	v_mul_f64 v[4:5], v[26:27], v[4:5]
	v_fma_f64 v[116:117], v[24:25], v[6:7], -v[4:5]
	v_accvgpr_read_b32 v27, a11
	v_accvgpr_read_b32 v26, a10
	;; [unrolled: 1-line block ×4, first 2 shown]
	v_mul_f64 v[122:123], v[26:27], v[18:19]
	v_mul_f64 v[4:5], v[26:27], v[16:17]
	v_fmac_f64_e32 v[122:123], v[24:25], v[16:17]
	v_fma_f64 v[120:121], v[24:25], v[18:19], -v[4:5]
	v_accvgpr_read_b32 v16, a16
	v_accvgpr_read_b32 v18, a18
	;; [unrolled: 1-line block ×4, first 2 shown]
	v_mul_f64 v[42:43], v[18:19], v[22:23]
	v_mul_f64 v[4:5], v[18:19], v[20:21]
	v_fmac_f64_e32 v[42:43], v[16:17], v[20:21]
	v_fma_f64 v[28:29], v[16:17], v[22:23], -v[4:5]
	ds_read_b128 v[4:7], v222 offset:4352
	ds_read_b128 v[16:19], v222 offset:4624
	v_accvgpr_read_b32 v20, a72
	v_accvgpr_read_b32 v22, a74
	;; [unrolled: 1-line block ×4, first 2 shown]
	s_waitcnt lgkmcnt(1)
	v_mul_f64 v[46:47], v[22:23], v[6:7]
	v_fmac_f64_e32 v[46:47], v[20:21], v[4:5]
	v_mul_f64 v[4:5], v[22:23], v[4:5]
	v_fma_f64 v[32:33], v[20:21], v[6:7], -v[4:5]
	v_accvgpr_read_b32 v20, a104
	v_accvgpr_read_b32 v22, a106
	;; [unrolled: 1-line block ×4, first 2 shown]
	v_mul_f64 v[80:81], v[22:23], v[10:11]
	v_mul_f64 v[4:5], v[22:23], v[8:9]
	v_fmac_f64_e32 v[80:81], v[20:21], v[8:9]
	v_fma_f64 v[44:45], v[20:21], v[10:11], -v[4:5]
	ds_read_b128 v[4:7], v222 offset:8160
	ds_read_b128 v[8:11], v222 offset:8432
	v_accvgpr_read_b32 v20, a56
	v_accvgpr_read_b32 v22, a58
	;; [unrolled: 1-line block ×4, first 2 shown]
	s_waitcnt lgkmcnt(1)
	v_mul_f64 v[114:115], v[22:23], v[6:7]
	v_fmac_f64_e32 v[114:115], v[20:21], v[4:5]
	v_mul_f64 v[4:5], v[22:23], v[4:5]
	v_fma_f64 v[112:113], v[20:21], v[6:7], -v[4:5]
	ds_read_b128 v[4:7], v222 offset:2720
	ds_read_b128 v[20:23], v222 offset:2992
	v_accvgpr_read_b32 v24, a116
	v_accvgpr_read_b32 v26, a118
	v_accvgpr_read_b32 v27, a119
	v_accvgpr_read_b32 v25, a117
	s_waitcnt lgkmcnt(1)
	v_mul_f64 v[30:31], v[26:27], v[6:7]
	v_fmac_f64_e32 v[30:31], v[24:25], v[4:5]
	v_mul_f64 v[4:5], v[26:27], v[4:5]
	v_fma_f64 v[34:35], v[24:25], v[6:7], -v[4:5]
	v_accvgpr_read_b32 v24, a132
	v_accvgpr_read_b32 v26, a134
	;; [unrolled: 1-line block ×4, first 2 shown]
	v_mul_f64 v[48:49], v[26:27], v[18:19]
	v_mul_f64 v[4:5], v[26:27], v[16:17]
	v_fmac_f64_e32 v[48:49], v[24:25], v[16:17]
	v_fma_f64 v[36:37], v[24:25], v[18:19], -v[4:5]
	ds_read_b128 v[4:7], v222 offset:6528
	ds_read_b128 v[16:19], v222 offset:6800
	v_accvgpr_read_b32 v24, a112
	v_accvgpr_read_b32 v26, a114
	;; [unrolled: 1-line block ×4, first 2 shown]
	s_waitcnt lgkmcnt(1)
	v_mul_f64 v[60:61], v[26:27], v[6:7]
	v_fmac_f64_e32 v[60:61], v[24:25], v[4:5]
	v_mul_f64 v[4:5], v[26:27], v[4:5]
	v_fma_f64 v[38:39], v[24:25], v[6:7], -v[4:5]
	v_accvgpr_read_b32 v24, a128
	v_accvgpr_read_b32 v26, a130
	;; [unrolled: 1-line block ×4, first 2 shown]
	v_mul_f64 v[62:63], v[26:27], v[10:11]
	v_fmac_f64_e32 v[62:63], v[24:25], v[8:9]
	v_mul_f64 v[4:5], v[26:27], v[8:9]
	v_accvgpr_read_b32 v6, a30
	v_accvgpr_read_b32 v8, a32
	;; [unrolled: 1-line block ×3, first 2 shown]
	v_fma_f64 v[52:53], v[24:25], v[10:11], -v[4:5]
	v_accvgpr_read_b32 v7, a31
	v_mul_f64 v[50:51], v[8:9], v[22:23]
	v_mul_f64 v[4:5], v[8:9], v[20:21]
	v_fmac_f64_e32 v[50:51], v[6:7], v[20:21]
	v_fma_f64 v[54:55], v[6:7], v[22:23], -v[4:5]
	ds_read_b128 v[4:7], v222 offset:4896
	ds_read_b128 v[8:11], v222 offset:5168
	v_accvgpr_read_b32 v20, a38
	v_accvgpr_read_b32 v22, a40
	;; [unrolled: 1-line block ×4, first 2 shown]
	s_waitcnt lgkmcnt(1)
	v_mul_f64 v[64:65], v[22:23], v[6:7]
	v_fmac_f64_e32 v[64:65], v[20:21], v[4:5]
	v_mul_f64 v[4:5], v[22:23], v[4:5]
	v_fma_f64 v[56:57], v[20:21], v[6:7], -v[4:5]
	v_accvgpr_read_b32 v20, a140
	v_accvgpr_read_b32 v22, a142
	;; [unrolled: 1-line block ×4, first 2 shown]
	v_mul_f64 v[72:73], v[22:23], v[18:19]
	v_mul_f64 v[4:5], v[22:23], v[16:17]
	v_fmac_f64_e32 v[72:73], v[20:21], v[16:17]
	v_fma_f64 v[58:59], v[20:21], v[18:19], -v[4:5]
	ds_read_b128 v[4:7], v222 offset:8704
	ds_read_b128 v[16:19], v222 offset:8976
	v_accvgpr_read_b32 v20, a120
	v_accvgpr_read_b32 v22, a122
	;; [unrolled: 1-line block ×4, first 2 shown]
	s_waitcnt lgkmcnt(1)
	v_mul_f64 v[74:75], v[22:23], v[6:7]
	v_fmac_f64_e32 v[74:75], v[20:21], v[4:5]
	v_mul_f64 v[4:5], v[22:23], v[4:5]
	v_fma_f64 v[68:69], v[20:21], v[6:7], -v[4:5]
	ds_read_b128 v[4:7], v222 offset:3264
	ds_read_b128 v[20:23], v222 offset:3536
	v_accvgpr_read_b32 v24, a238
	v_accvgpr_read_b32 v26, a240
	;; [unrolled: 1-line block ×3, first 2 shown]
	s_waitcnt lgkmcnt(1)
	v_mul_f64 v[66:67], v[230:231], v[6:7]
	v_fmac_f64_e32 v[66:67], v[228:229], v[4:5]
	v_mul_f64 v[4:5], v[230:231], v[4:5]
	v_fma_f64 v[70:71], v[228:229], v[6:7], -v[4:5]
	v_accvgpr_read_b32 v25, a239
	v_mul_f64 v[90:91], v[26:27], v[10:11]
	v_mul_f64 v[4:5], v[26:27], v[8:9]
	v_fmac_f64_e32 v[90:91], v[24:25], v[8:9]
	v_fma_f64 v[76:77], v[24:25], v[10:11], -v[4:5]
	ds_read_b128 v[4:7], v222 offset:7072
	ds_read_b128 v[8:11], v222 offset:7344
	v_accvgpr_read_b32 v24, a222
	v_accvgpr_read_b32 v26, a224
	;; [unrolled: 1-line block ×4, first 2 shown]
	s_waitcnt lgkmcnt(1)
	v_mul_f64 v[108:109], v[26:27], v[6:7]
	v_fmac_f64_e32 v[108:109], v[24:25], v[4:5]
	v_mul_f64 v[4:5], v[26:27], v[4:5]
	v_fma_f64 v[88:89], v[24:25], v[6:7], -v[4:5]
	v_accvgpr_read_b32 v24, a214
	v_accvgpr_read_b32 v26, a216
	v_accvgpr_read_b32 v27, a217
	v_accvgpr_read_b32 v25, a215
	v_mul_f64 v[4:5], v[26:27], v[16:17]
	v_fma_f64 v[106:107], v[24:25], v[18:19], -v[4:5]
	v_mul_f64 v[4:5], v[250:251], v[20:21]
	v_fma_f64 v[86:87], v[248:249], v[22:23], -v[4:5]
	;; [unrolled: 2-line block ×3, first 2 shown]
	s_waitcnt lgkmcnt(0)
	v_mul_f64 v[4:5], v[242:243], v[8:9]
	v_fma_f64 v[96:97], v[240:241], v[10:11], -v[4:5]
	ds_read_b128 v[4:7], v222 offset:9248
	v_mul_f64 v[110:111], v[26:27], v[18:19]
	v_mul_f64 v[94:95], v[250:251], v[22:23]
	v_fmac_f64_e32 v[110:111], v[24:25], v[16:17]
	v_fmac_f64_e32 v[94:95], v[248:249], v[20:21]
	ds_read_b128 v[24:27], v222
	ds_read_b128 v[20:23], v222 offset:272
	s_waitcnt lgkmcnt(2)
	v_mul_f64 v[104:105], v[238:239], v[6:7]
	v_fmac_f64_e32 v[104:105], v[236:237], v[4:5]
	v_mul_f64 v[4:5], v[238:239], v[4:5]
	v_fma_f64 v[100:101], v[236:237], v[6:7], -v[4:5]
	s_waitcnt lgkmcnt(1)
	v_add_f64 v[4:5], v[24:25], v[126:127]
	v_add_f64 v[6:7], v[26:27], v[124:125]
	;; [unrolled: 1-line block ×8, first 2 shown]
	ds_write_b128 v222, v[4:7]
	v_add_f64 v[4:5], v[126:127], -v[130:131]
	v_add_f64 v[6:7], v[138:139], -v[134:135]
	v_add_f64 v[148:149], v[4:5], v[6:7]
	v_add_f64 v[4:5], v[130:131], v[134:135]
	v_fma_f64 v[140:141], -0.5, v[4:5], v[24:25]
	v_add_f64 v[4:5], v[128:129], v[132:133]
	s_mov_b32 s10, 0x134454ff
	v_fma_f64 v[142:143], -0.5, v[4:5], v[26:27]
	s_mov_b32 s11, 0xbfee6f0e
	s_mov_b32 s0, 0x4755a5e
	v_add_f64 v[152:153], v[124:125], -v[136:137]
	s_mov_b32 s13, 0x3fee6f0e
	s_mov_b32 s12, s10
	v_add_f64 v[156:157], v[126:127], -v[138:139]
	v_add_f64 v[4:5], v[124:125], -v[128:129]
	;; [unrolled: 1-line block ×3, first 2 shown]
	s_mov_b32 s1, 0xbfe2cf23
	v_add_f64 v[154:155], v[128:129], -v[132:133]
	v_fma_f64 v[144:145], s[10:11], v[152:153], v[140:141]
	s_mov_b32 s8, 0x372fe950
	s_mov_b32 s15, 0x3fe2cf23
	;; [unrolled: 1-line block ×3, first 2 shown]
	v_fma_f64 v[146:147], s[12:13], v[156:157], v[142:143]
	v_add_f64 v[158:159], v[130:131], -v[134:135]
	v_add_f64 v[150:151], v[4:5], v[6:7]
	v_fmac_f64_e32 v[144:145], s[0:1], v[154:155]
	s_mov_b32 s9, 0x3fd3c6ef
	v_fmac_f64_e32 v[146:147], s[14:15], v[158:159]
	v_mul_f64 v[98:99], v[246:247], v[14:15]
	v_mul_f64 v[102:103], v[242:243], v[10:11]
	v_fmac_f64_e32 v[144:145], s[8:9], v[148:149]
	v_fmac_f64_e32 v[146:147], s[8:9], v[150:151]
	;; [unrolled: 1-line block ×4, first 2 shown]
	ds_read_b128 v[16:19], v222 offset:544
	ds_read_b128 v[12:15], v222 offset:816
	;; [unrolled: 1-line block ×4, first 2 shown]
	ds_write_b128 v180, v[144:147] offset:1904
	v_add_f64 v[144:145], v[126:127], v[138:139]
	v_add_f64 v[126:127], v[130:131], -v[126:127]
	v_add_f64 v[130:131], v[134:135], -v[138:139]
	v_add_f64 v[130:131], v[126:127], v[130:131]
	v_add_f64 v[126:127], v[124:125], v[136:137]
	v_fmac_f64_e32 v[24:25], -0.5, v[144:145]
	v_fmac_f64_e32 v[26:27], -0.5, v[126:127]
	v_add_f64 v[124:125], v[128:129], -v[124:125]
	v_add_f64 v[126:127], v[132:133], -v[136:137]
	v_add_f64 v[128:129], v[124:125], v[126:127]
	v_fma_f64 v[124:125], s[12:13], v[154:155], v[24:25]
	v_fma_f64 v[126:127], s[10:11], v[158:159], v[26:27]
	v_fmac_f64_e32 v[24:25], s[10:11], v[154:155]
	v_fmac_f64_e32 v[26:27], s[12:13], v[158:159]
	;; [unrolled: 1-line block ×6, first 2 shown]
	ds_write_b128 v180, v[24:27] offset:5712
	s_waitcnt lgkmcnt(7)
	v_add_f64 v[24:25], v[20:21], v[78:79]
	v_add_f64 v[26:27], v[22:23], v[40:41]
	v_fmac_f64_e32 v[140:141], s[12:13], v[152:153]
	v_fmac_f64_e32 v[142:143], s[10:11], v[156:157]
	v_add_f64 v[24:25], v[24:25], v[84:85]
	v_add_f64 v[26:27], v[26:27], v[82:83]
	v_fmac_f64_e32 v[124:125], s[0:1], v[152:153]
	v_fmac_f64_e32 v[126:127], s[14:15], v[156:157]
	;; [unrolled: 1-line block ×4, first 2 shown]
	v_add_f64 v[24:25], v[24:25], v[118:119]
	v_add_f64 v[26:27], v[26:27], v[116:117]
	v_fmac_f64_e32 v[124:125], s[8:9], v[130:131]
	v_fmac_f64_e32 v[126:127], s[8:9], v[128:129]
	;; [unrolled: 1-line block ×4, first 2 shown]
	v_add_f64 v[24:25], v[24:25], v[122:123]
	v_add_f64 v[26:27], v[26:27], v[120:121]
	ds_write_b128 v180, v[124:127] offset:3808
	ds_write_b128 v180, v[140:143] offset:7616
	;; [unrolled: 1-line block ×3, first 2 shown]
	v_add_f64 v[24:25], v[78:79], -v[84:85]
	v_add_f64 v[26:27], v[122:123], -v[118:119]
	v_add_f64 v[128:129], v[24:25], v[26:27]
	v_add_f64 v[24:25], v[84:85], v[118:119]
	;; [unrolled: 1-line block ×3, first 2 shown]
	v_fma_f64 v[24:25], -0.5, v[24:25], v[20:21]
	v_fma_f64 v[26:27], -0.5, v[26:27], v[22:23]
	v_add_f64 v[124:125], v[40:41], -v[82:83]
	v_add_f64 v[126:127], v[120:121], -v[116:117]
	;; [unrolled: 1-line block ×4, first 2 shown]
	v_add_f64 v[130:131], v[124:125], v[126:127]
	v_add_f64 v[134:135], v[82:83], -v[116:117]
	v_fma_f64 v[124:125], s[10:11], v[132:133], v[24:25]
	v_fma_f64 v[126:127], s[12:13], v[136:137], v[26:27]
	v_add_f64 v[138:139], v[84:85], -v[118:119]
	v_fmac_f64_e32 v[124:125], s[0:1], v[134:135]
	v_fmac_f64_e32 v[126:127], s[14:15], v[138:139]
	;; [unrolled: 1-line block ×4, first 2 shown]
	ds_write_b128 v180, v[124:127] offset:2176
	v_add_f64 v[124:125], v[78:79], v[122:123]
	v_add_f64 v[78:79], v[84:85], -v[78:79]
	v_add_f64 v[84:85], v[118:119], -v[122:123]
	v_add_f64 v[78:79], v[78:79], v[84:85]
	v_add_f64 v[84:85], v[40:41], v[120:121]
	v_fmac_f64_e32 v[20:21], -0.5, v[124:125]
	v_fmac_f64_e32 v[22:23], -0.5, v[84:85]
	v_add_f64 v[40:41], v[82:83], -v[40:41]
	v_add_f64 v[82:83], v[116:117], -v[120:121]
	v_add_f64 v[40:41], v[40:41], v[82:83]
	v_fma_f64 v[82:83], s[12:13], v[134:135], v[20:21]
	v_fma_f64 v[84:85], s[10:11], v[138:139], v[22:23]
	v_fmac_f64_e32 v[20:21], s[10:11], v[134:135]
	v_fmac_f64_e32 v[22:23], s[12:13], v[138:139]
	;; [unrolled: 1-line block ×8, first 2 shown]
	ds_write_b128 v180, v[20:23] offset:5984
	v_fmac_f64_e32 v[24:25], s[14:15], v[134:135]
	v_fmac_f64_e32 v[26:27], s[0:1], v[138:139]
	v_add_f64 v[20:21], v[42:43], -v[46:47]
	v_add_f64 v[22:23], v[114:115], -v[80:81]
	v_fmac_f64_e32 v[24:25], s[8:9], v[128:129]
	v_fmac_f64_e32 v[26:27], s[8:9], v[130:131]
	v_add_f64 v[22:23], v[20:21], v[22:23]
	v_add_f64 v[20:21], v[46:47], v[80:81]
	v_fmac_f64_e32 v[82:83], s[0:1], v[132:133]
	ds_write_b128 v180, v[24:27] offset:7888
	s_waitcnt lgkmcnt(11)
	v_fma_f64 v[20:21], -0.5, v[20:21], v[16:17]
	v_add_f64 v[24:25], v[28:29], -v[112:113]
	v_fmac_f64_e32 v[82:83], s[8:9], v[78:79]
	v_fmac_f64_e32 v[84:85], s[14:15], v[136:137]
	v_add_f64 v[26:27], v[32:33], -v[44:45]
	v_fma_f64 v[78:79], s[10:11], v[24:25], v[20:21]
	v_fmac_f64_e32 v[20:21], s[12:13], v[24:25]
	v_fmac_f64_e32 v[84:85], s[8:9], v[40:41]
	;; [unrolled: 1-line block ×4, first 2 shown]
	v_add_f64 v[40:41], v[42:43], v[114:115]
	ds_write_b128 v180, v[82:85] offset:4080
	v_fmac_f64_e32 v[78:79], s[8:9], v[22:23]
	v_fmac_f64_e32 v[20:21], s[8:9], v[22:23]
	v_add_f64 v[22:23], v[16:17], v[42:43]
	v_fmac_f64_e32 v[16:17], -0.5, v[40:41]
	v_add_f64 v[40:41], v[46:47], -v[42:43]
	v_add_f64 v[82:83], v[80:81], -v[114:115]
	v_add_f64 v[82:83], v[40:41], v[82:83]
	v_fma_f64 v[40:41], s[12:13], v[26:27], v[16:17]
	v_fmac_f64_e32 v[16:17], s[10:11], v[26:27]
	v_fmac_f64_e32 v[40:41], s[0:1], v[24:25]
	;; [unrolled: 1-line block ×3, first 2 shown]
	v_add_f64 v[22:23], v[22:23], v[46:47]
	v_add_f64 v[24:25], v[18:19], v[28:29]
	;; [unrolled: 1-line block ×4, first 2 shown]
	v_fmac_f64_e32 v[40:41], s[8:9], v[82:83]
	v_fmac_f64_e32 v[16:17], s[8:9], v[82:83]
	v_add_f64 v[24:25], v[24:25], v[44:45]
	v_add_f64 v[82:83], v[22:23], v[114:115]
	;; [unrolled: 1-line block ×4, first 2 shown]
	v_fma_f64 v[22:23], -0.5, v[22:23], v[18:19]
	v_add_f64 v[24:25], v[42:43], -v[114:115]
	v_add_f64 v[26:27], v[46:47], -v[80:81]
	v_add_f64 v[42:43], v[28:29], -v[32:33]
	v_add_f64 v[46:47], v[112:113], -v[44:45]
	v_fma_f64 v[80:81], s[12:13], v[24:25], v[22:23]
	v_fmac_f64_e32 v[22:23], s[10:11], v[24:25]
	v_add_f64 v[42:43], v[42:43], v[46:47]
	v_fmac_f64_e32 v[80:81], s[14:15], v[26:27]
	v_fmac_f64_e32 v[22:23], s[0:1], v[26:27]
	;; [unrolled: 1-line block ×4, first 2 shown]
	v_add_f64 v[42:43], v[28:29], v[112:113]
	v_fmac_f64_e32 v[18:19], -0.5, v[42:43]
	v_fma_f64 v[42:43], s[10:11], v[26:27], v[18:19]
	v_fmac_f64_e32 v[18:19], s[12:13], v[26:27]
	v_fmac_f64_e32 v[42:43], s[14:15], v[24:25]
	;; [unrolled: 1-line block ×3, first 2 shown]
	v_add_f64 v[24:25], v[30:31], -v[48:49]
	v_add_f64 v[26:27], v[62:63], -v[60:61]
	;; [unrolled: 1-line block ×4, first 2 shown]
	v_add_f64 v[26:27], v[24:25], v[26:27]
	v_add_f64 v[24:25], v[48:49], v[60:61]
	;; [unrolled: 1-line block ×3, first 2 shown]
	s_waitcnt lgkmcnt(11)
	v_fma_f64 v[24:25], -0.5, v[24:25], v[12:13]
	v_add_f64 v[44:45], v[34:35], -v[52:53]
	v_fmac_f64_e32 v[42:43], s[8:9], v[28:29]
	v_fmac_f64_e32 v[18:19], s[8:9], v[28:29]
	v_add_f64 v[46:47], v[36:37], -v[38:39]
	v_fma_f64 v[28:29], s[10:11], v[44:45], v[24:25]
	v_fmac_f64_e32 v[24:25], s[12:13], v[44:45]
	v_fmac_f64_e32 v[28:29], s[0:1], v[46:47]
	;; [unrolled: 1-line block ×3, first 2 shown]
	v_add_f64 v[32:33], v[30:31], v[62:63]
	v_fmac_f64_e32 v[28:29], s[8:9], v[26:27]
	v_fmac_f64_e32 v[24:25], s[8:9], v[26:27]
	v_add_f64 v[26:27], v[12:13], v[30:31]
	v_fmac_f64_e32 v[12:13], -0.5, v[32:33]
	v_add_f64 v[32:33], v[48:49], -v[30:31]
	v_add_f64 v[112:113], v[60:61], -v[62:63]
	v_add_f64 v[112:113], v[32:33], v[112:113]
	v_fma_f64 v[32:33], s[12:13], v[46:47], v[12:13]
	v_fmac_f64_e32 v[12:13], s[10:11], v[46:47]
	v_fmac_f64_e32 v[32:33], s[0:1], v[44:45]
	;; [unrolled: 1-line block ×3, first 2 shown]
	v_add_f64 v[26:27], v[26:27], v[48:49]
	v_add_f64 v[44:45], v[14:15], v[34:35]
	;; [unrolled: 1-line block ×7, first 2 shown]
	v_fma_f64 v[26:27], -0.5, v[26:27], v[14:15]
	v_add_f64 v[62:63], v[30:31], -v[62:63]
	v_add_f64 v[48:49], v[48:49], -v[60:61]
	;; [unrolled: 1-line block ×4, first 2 shown]
	v_add_f64 v[60:61], v[30:31], v[60:61]
	v_fma_f64 v[30:31], s[12:13], v[62:63], v[26:27]
	v_fmac_f64_e32 v[26:27], s[10:11], v[62:63]
	v_fmac_f64_e32 v[30:31], s[14:15], v[48:49]
	;; [unrolled: 1-line block ×5, first 2 shown]
	v_add_f64 v[60:61], v[34:35], v[52:53]
	v_fmac_f64_e32 v[14:15], -0.5, v[60:61]
	v_add_f64 v[34:35], v[36:37], -v[34:35]
	v_add_f64 v[36:37], v[38:39], -v[52:53]
	v_add_f64 v[36:37], v[34:35], v[36:37]
	v_fma_f64 v[34:35], s[10:11], v[48:49], v[14:15]
	v_fmac_f64_e32 v[14:15], s[12:13], v[48:49]
	v_fmac_f64_e32 v[34:35], s[14:15], v[62:63]
	;; [unrolled: 1-line block ×5, first 2 shown]
	v_add_f64 v[36:37], v[50:51], -v[64:65]
	v_add_f64 v[38:39], v[74:75], -v[72:73]
	v_add_f64 v[38:39], v[36:37], v[38:39]
	v_add_f64 v[36:37], v[64:65], v[72:73]
	s_waitcnt lgkmcnt(10)
	v_fma_f64 v[36:37], -0.5, v[36:37], v[8:9]
	v_add_f64 v[60:61], v[54:55], -v[68:69]
	v_add_f64 v[62:63], v[56:57], -v[58:59]
	v_fma_f64 v[48:49], s[10:11], v[60:61], v[36:37]
	v_fmac_f64_e32 v[36:37], s[12:13], v[60:61]
	v_add_f64 v[46:47], v[46:47], v[52:53]
	v_fmac_f64_e32 v[48:49], s[0:1], v[62:63]
	v_fmac_f64_e32 v[36:37], s[14:15], v[62:63]
	v_add_f64 v[52:53], v[50:51], v[74:75]
	v_fmac_f64_e32 v[32:33], s[8:9], v[112:113]
	v_fmac_f64_e32 v[12:13], s[8:9], v[112:113]
	;; [unrolled: 1-line block ×4, first 2 shown]
	v_add_f64 v[38:39], v[8:9], v[50:51]
	v_fmac_f64_e32 v[8:9], -0.5, v[52:53]
	v_add_f64 v[52:53], v[64:65], -v[50:51]
	v_add_f64 v[112:113], v[72:73], -v[74:75]
	v_add_f64 v[112:113], v[52:53], v[112:113]
	v_fma_f64 v[52:53], s[12:13], v[62:63], v[8:9]
	v_fmac_f64_e32 v[8:9], s[10:11], v[62:63]
	v_fmac_f64_e32 v[52:53], s[0:1], v[60:61]
	;; [unrolled: 1-line block ×3, first 2 shown]
	v_add_f64 v[38:39], v[38:39], v[64:65]
	v_add_f64 v[60:61], v[10:11], v[54:55]
	;; [unrolled: 1-line block ×7, first 2 shown]
	v_fma_f64 v[38:39], -0.5, v[38:39], v[10:11]
	v_add_f64 v[74:75], v[50:51], -v[74:75]
	v_add_f64 v[64:65], v[64:65], -v[72:73]
	;; [unrolled: 1-line block ×4, first 2 shown]
	v_add_f64 v[72:73], v[50:51], v[72:73]
	v_fma_f64 v[50:51], s[12:13], v[74:75], v[38:39]
	v_fmac_f64_e32 v[38:39], s[10:11], v[74:75]
	v_fmac_f64_e32 v[50:51], s[14:15], v[64:65]
	v_fmac_f64_e32 v[38:39], s[0:1], v[64:65]
	v_fmac_f64_e32 v[50:51], s[8:9], v[72:73]
	v_fmac_f64_e32 v[38:39], s[8:9], v[72:73]
	v_add_f64 v[72:73], v[54:55], v[68:69]
	v_fmac_f64_e32 v[10:11], -0.5, v[72:73]
	v_add_f64 v[54:55], v[56:57], -v[54:55]
	v_add_f64 v[56:57], v[58:59], -v[68:69]
	v_add_f64 v[56:57], v[54:55], v[56:57]
	v_fma_f64 v[54:55], s[10:11], v[64:65], v[10:11]
	v_fmac_f64_e32 v[10:11], s[12:13], v[64:65]
	v_fmac_f64_e32 v[54:55], s[14:15], v[74:75]
	;; [unrolled: 1-line block ×5, first 2 shown]
	v_add_f64 v[56:57], v[66:67], -v[90:91]
	v_add_f64 v[58:59], v[110:111], -v[108:109]
	v_add_f64 v[58:59], v[56:57], v[58:59]
	v_add_f64 v[56:57], v[90:91], v[108:109]
	s_waitcnt lgkmcnt(9)
	v_fma_f64 v[56:57], -0.5, v[56:57], v[4:5]
	v_add_f64 v[72:73], v[70:71], -v[106:107]
	v_add_f64 v[74:75], v[76:77], -v[88:89]
	v_fma_f64 v[64:65], s[10:11], v[72:73], v[56:57]
	v_fmac_f64_e32 v[56:57], s[12:13], v[72:73]
	v_add_f64 v[62:63], v[62:63], v[68:69]
	v_fmac_f64_e32 v[64:65], s[0:1], v[74:75]
	v_fmac_f64_e32 v[56:57], s[14:15], v[74:75]
	v_add_f64 v[68:69], v[66:67], v[110:111]
	v_fmac_f64_e32 v[52:53], s[8:9], v[112:113]
	v_fmac_f64_e32 v[8:9], s[8:9], v[112:113]
	v_fmac_f64_e32 v[64:65], s[8:9], v[58:59]
	v_fmac_f64_e32 v[56:57], s[8:9], v[58:59]
	v_add_f64 v[58:59], v[4:5], v[66:67]
	v_fmac_f64_e32 v[4:5], -0.5, v[68:69]
	v_add_f64 v[68:69], v[90:91], -v[66:67]
	v_add_f64 v[112:113], v[108:109], -v[110:111]
	v_add_f64 v[112:113], v[68:69], v[112:113]
	v_fma_f64 v[68:69], s[12:13], v[74:75], v[4:5]
	v_fmac_f64_e32 v[4:5], s[10:11], v[74:75]
	v_fmac_f64_e32 v[68:69], s[0:1], v[72:73]
	;; [unrolled: 1-line block ×3, first 2 shown]
	v_add_f64 v[58:59], v[58:59], v[90:91]
	v_add_f64 v[72:73], v[6:7], v[70:71]
	;; [unrolled: 1-line block ×7, first 2 shown]
	v_fma_f64 v[58:59], -0.5, v[58:59], v[6:7]
	v_add_f64 v[110:111], v[66:67], -v[110:111]
	v_add_f64 v[90:91], v[90:91], -v[108:109]
	;; [unrolled: 1-line block ×4, first 2 shown]
	v_add_f64 v[108:109], v[66:67], v[108:109]
	v_fma_f64 v[66:67], s[12:13], v[110:111], v[58:59]
	v_fmac_f64_e32 v[58:59], s[10:11], v[110:111]
	v_fmac_f64_e32 v[66:67], s[14:15], v[90:91]
	;; [unrolled: 1-line block ×5, first 2 shown]
	v_add_f64 v[108:109], v[70:71], v[106:107]
	v_fmac_f64_e32 v[6:7], -0.5, v[108:109]
	v_add_f64 v[70:71], v[76:77], -v[70:71]
	v_add_f64 v[76:77], v[88:89], -v[106:107]
	v_add_f64 v[76:77], v[70:71], v[76:77]
	v_fma_f64 v[70:71], s[10:11], v[90:91], v[6:7]
	v_fmac_f64_e32 v[6:7], s[12:13], v[90:91]
	v_fmac_f64_e32 v[70:71], s[14:15], v[110:111]
	;; [unrolled: 1-line block ×5, first 2 shown]
	v_add_f64 v[76:77], v[98:99], v[102:103]
	ds_write_b128 v222, v[82:85] offset:544
	v_fma_f64 v[76:77], -0.5, v[76:77], v[0:1]
	ds_write_b128 v181, v[78:81] offset:1904
	v_add_f64 v[78:79], v[94:95], -v[98:99]
	v_add_f64 v[80:81], v[104:105], -v[102:103]
	;; [unrolled: 1-line block ×3, first 2 shown]
	v_add_f64 v[78:79], v[78:79], v[80:81]
	v_add_f64 v[88:89], v[92:93], -v[96:97]
	v_fma_f64 v[80:81], s[10:11], v[82:83], v[76:77]
	v_fmac_f64_e32 v[76:77], s[12:13], v[82:83]
	v_fmac_f64_e32 v[80:81], s[0:1], v[88:89]
	;; [unrolled: 1-line block ×3, first 2 shown]
	v_add_f64 v[84:85], v[94:95], v[104:105]
	v_fmac_f64_e32 v[80:81], s[8:9], v[78:79]
	v_fmac_f64_e32 v[76:77], s[8:9], v[78:79]
	v_add_f64 v[78:79], v[0:1], v[94:95]
	v_fmac_f64_e32 v[0:1], -0.5, v[84:85]
	v_add_f64 v[84:85], v[98:99], -v[94:95]
	v_add_f64 v[90:91], v[102:103], -v[104:105]
	v_add_f64 v[90:91], v[84:85], v[90:91]
	v_fma_f64 v[84:85], s[12:13], v[88:89], v[0:1]
	v_fmac_f64_e32 v[0:1], s[10:11], v[88:89]
	v_fmac_f64_e32 v[84:85], s[0:1], v[82:83]
	v_fmac_f64_e32 v[0:1], s[14:15], v[82:83]
	v_add_f64 v[78:79], v[78:79], v[98:99]
	v_add_f64 v[82:83], v[2:3], v[86:87]
	;; [unrolled: 1-line block ×7, first 2 shown]
	v_fmac_f64_e32 v[84:85], s[8:9], v[90:91]
	v_fmac_f64_e32 v[0:1], s[8:9], v[90:91]
	v_add_f64 v[90:91], v[82:83], v[100:101]
	v_fma_f64 v[78:79], -0.5, v[78:79], v[2:3]
	v_add_f64 v[104:105], v[94:95], -v[104:105]
	v_add_f64 v[94:95], v[98:99], -v[102:103]
	;; [unrolled: 1-line block ×4, first 2 shown]
	v_add_f64 v[98:99], v[82:83], v[98:99]
	v_fma_f64 v[82:83], s[12:13], v[104:105], v[78:79]
	v_fmac_f64_e32 v[78:79], s[10:11], v[104:105]
	v_fmac_f64_e32 v[82:83], s[14:15], v[94:95]
	;; [unrolled: 1-line block ×5, first 2 shown]
	v_add_f64 v[98:99], v[86:87], v[100:101]
	v_fmac_f64_e32 v[2:3], -0.5, v[98:99]
	v_add_f64 v[86:87], v[92:93], -v[86:87]
	v_add_f64 v[92:93], v[96:97], -v[100:101]
	v_add_f64 v[98:99], v[86:87], v[92:93]
	v_fma_f64 v[86:87], s[10:11], v[94:95], v[2:3]
	v_fmac_f64_e32 v[2:3], s[12:13], v[94:95]
	v_fmac_f64_e32 v[86:87], s[14:15], v[104:105]
	;; [unrolled: 1-line block ×5, first 2 shown]
	v_add_f64 v[74:75], v[74:75], v[106:107]
	v_fmac_f64_e32 v[86:87], s[8:9], v[98:99]
	v_fmac_f64_e32 v[2:3], s[8:9], v[98:99]
	ds_write_b128 v181, v[40:43] offset:3808
	ds_write_b128 v181, v[16:19] offset:5712
	;; [unrolled: 1-line block ×23, first 2 shown]
	s_waitcnt lgkmcnt(0)
	; wave barrier
	s_waitcnt lgkmcnt(0)
	scratch_load_dwordx4 v[10:13], off, off offset:560 ; 16-byte Folded Reload
	scratch_load_dwordx4 v[20:23], off, off offset:192 ; 16-byte Folded Reload
	scratch_load_dwordx4 v[42:45], off, off offset:368 ; 16-byte Folded Reload
	ds_read_b128 v[4:7], v222
	v_accvgpr_read_b32 v100, a46
	v_mov_b32_e32 v92, s2
	v_mov_b32_e32 v93, s3
	v_mad_u64_u32 v[94:95], s[2:3], s6, v100, 0
	v_mov_b32_e32 v96, v95
	v_mad_u64_u32 v[0:1], s[0:1], s7, v100, v[96:97]
	v_mov_b32_e32 v95, v0
	ds_read_b128 v[0:3], v222 offset:272
	s_mov_b32 s0, 0x1b89401c
	s_mov_b32 s1, 0x3f5b8940
	v_lshl_add_u64 v[16:17], v[94:95], 4, v[92:93]
	scratch_load_dwordx4 v[28:31], off, off offset:416 ; 16-byte Folded Reload
	scratch_load_dwordx4 v[36:39], off, off offset:400 ; 16-byte Folded Reload
	;; [unrolled: 1-line block ×3, first 2 shown]
	v_mov_b32_e32 v40, 0x550
	v_mov_b32_e32 v41, 0xffffe130
	s_waitcnt vmcnt(5) lgkmcnt(1)
	v_mul_f64 v[8:9], v[12:13], v[6:7]
	v_fmac_f64_e32 v[8:9], v[10:11], v[4:5]
	v_mul_f64 v[4:5], v[12:13], v[4:5]
	v_fma_f64 v[4:5], v[10:11], v[6:7], -v[4:5]
	v_mad_u64_u32 v[12:13], s[2:3], s4, v226, 0
	v_mul_f64 v[10:11], v[4:5], s[0:1]
	v_mov_b32_e32 v4, v13
	v_mad_u64_u32 v[4:5], s[2:3], s5, v226, v[4:5]
	v_mov_b32_e32 v13, v4
	ds_read_b128 v[4:7], v222 offset:1360
	v_mul_f64 v[8:9], v[8:9], s[0:1]
	v_lshl_add_u64 v[12:13], v[12:13], 4, v[16:17]
	global_store_dwordx4 v[12:13], v[8:11], off
	ds_read_b128 v[8:11], v222 offset:1088
	s_waitcnt vmcnt(5) lgkmcnt(1)
	v_mul_f64 v[14:15], v[22:23], v[6:7]
	v_fmac_f64_e32 v[14:15], v[20:21], v[4:5]
	v_mul_f64 v[4:5], v[22:23], v[4:5]
	scratch_load_dwordx4 v[22:25], off, off offset:336 ; 16-byte Folded Reload
	v_fma_f64 v[4:5], v[20:21], v[6:7], -v[4:5]
	v_mul_f64 v[20:21], v[4:5], s[0:1]
	ds_read_b128 v[4:7], v222 offset:2720
	v_mad_u64_u32 v[26:27], s[2:3], s4, v40, v[12:13]
	s_mul_i32 s2, s5, 0x550
	v_mul_f64 v[18:19], v[14:15], s[0:1]
	v_add_u32_e32 v27, s2, v27
	global_store_dwordx4 v[26:27], v[18:21], off
	ds_read_b128 v[18:21], v222 offset:2992
	v_mad_u64_u32 v[26:27], s[6:7], s4, v40, v[26:27]
	v_add_u32_e32 v27, s2, v27
	s_mul_i32 s3, s5, 0xffffe130
	s_sub_i32 s3, s3, s4
	s_waitcnt vmcnt(1) lgkmcnt(1)
	v_mul_f64 v[12:13], v[24:25], v[6:7]
	v_fmac_f64_e32 v[12:13], v[22:23], v[4:5]
	v_mul_f64 v[4:5], v[24:25], v[4:5]
	v_fma_f64 v[4:5], v[22:23], v[6:7], -v[4:5]
	ds_read_b128 v[22:25], v222 offset:4080
	v_mul_f64 v[12:13], v[12:13], s[0:1]
	v_mul_f64 v[14:15], v[4:5], s[0:1]
	ds_read_b128 v[4:7], v222 offset:3808
	global_store_dwordx4 v[26:27], v[12:15], off
	s_waitcnt lgkmcnt(1)
	s_nop 0
	v_mul_f64 v[12:13], v[30:31], v[24:25]
	v_mul_f64 v[14:15], v[30:31], v[22:23]
	v_fmac_f64_e32 v[12:13], v[28:29], v[22:23]
	v_fma_f64 v[14:15], v[28:29], v[24:25], -v[14:15]
	ds_read_b128 v[22:25], v222 offset:5440
	v_mad_u64_u32 v[30:31], s[6:7], s4, v40, v[26:27]
	ds_read_b128 v[26:29], v222 offset:5712
	v_mul_f64 v[12:13], v[12:13], s[0:1]
	v_mul_f64 v[14:15], v[14:15], s[0:1]
	v_add_u32_e32 v31, s2, v31
	global_store_dwordx4 v[30:31], v[12:15], off
	s_waitcnt lgkmcnt(1)
	s_nop 0
	v_mul_f64 v[12:13], v[34:35], v[24:25]
	v_mul_f64 v[14:15], v[34:35], v[22:23]
	v_fmac_f64_e32 v[12:13], v[32:33], v[22:23]
	v_fma_f64 v[14:15], v[32:33], v[24:25], -v[14:15]
	ds_read_b128 v[22:25], v222 offset:6800
	v_mad_u64_u32 v[34:35], s[6:7], s4, v40, v[30:31]
	v_mul_f64 v[12:13], v[12:13], s[0:1]
	v_mul_f64 v[14:15], v[14:15], s[0:1]
	v_add_u32_e32 v35, s2, v35
	global_store_dwordx4 v[34:35], v[12:15], off
	ds_read_b128 v[12:15], v222 offset:6528
	s_waitcnt lgkmcnt(1)
	v_mul_f64 v[30:31], v[38:39], v[24:25]
	v_fmac_f64_e32 v[30:31], v[36:37], v[22:23]
	v_mul_f64 v[22:23], v[38:39], v[22:23]
	v_fma_f64 v[22:23], v[36:37], v[24:25], -v[22:23]
	v_mul_f64 v[32:33], v[22:23], s[0:1]
	ds_read_b128 v[22:25], v222 offset:8160
	v_mad_u64_u32 v[38:39], s[6:7], s4, v40, v[34:35]
	v_mul_f64 v[30:31], v[30:31], s[0:1]
	v_add_u32_e32 v39, s2, v39
	global_store_dwordx4 v[38:39], v[30:33], off
	ds_read_b128 v[30:33], v222 offset:8432
	s_waitcnt lgkmcnt(1)
	v_mul_f64 v[34:35], v[44:45], v[24:25]
	v_fmac_f64_e32 v[34:35], v[42:43], v[22:23]
	v_mul_f64 v[22:23], v[44:45], v[22:23]
	v_fma_f64 v[22:23], v[42:43], v[24:25], -v[22:23]
	v_mad_u64_u32 v[38:39], s[6:7], s4, v40, v[38:39]
	v_mul_f64 v[34:35], v[34:35], s[0:1]
	v_mul_f64 v[36:37], v[22:23], s[0:1]
	v_add_u32_e32 v39, s2, v39
	global_store_dwordx4 v[38:39], v[34:37], off
	scratch_load_dwordx4 v[34:37], off, off offset:352 ; 16-byte Folded Reload
	v_mad_u64_u32 v[38:39], s[6:7], s4, v41, v[38:39]
	scratch_load_dwordx4 v[42:45], off, off offset:288 ; 16-byte Folded Reload
	v_add_u32_e32 v39, s3, v39
	s_waitcnt vmcnt(1)
	v_mul_f64 v[22:23], v[36:37], v[2:3]
	v_fmac_f64_e32 v[22:23], v[34:35], v[0:1]
	v_mul_f64 v[0:1], v[36:37], v[0:1]
	v_fma_f64 v[0:1], v[34:35], v[2:3], -v[0:1]
	v_mul_f64 v[24:25], v[0:1], s[0:1]
	ds_read_b128 v[0:3], v222 offset:1632
	v_mul_f64 v[22:23], v[22:23], s[0:1]
	global_store_dwordx4 v[38:39], v[22:25], off
	ds_read_b128 v[22:25], v222 offset:1904
	v_mad_u64_u32 v[38:39], s[6:7], s4, v40, v[38:39]
	s_waitcnt vmcnt(1) lgkmcnt(1)
	v_mul_f64 v[34:35], v[44:45], v[2:3]
	v_fmac_f64_e32 v[34:35], v[42:43], v[0:1]
	v_mul_f64 v[0:1], v[44:45], v[0:1]
	v_fma_f64 v[0:1], v[42:43], v[2:3], -v[0:1]
	v_mul_f64 v[34:35], v[34:35], s[0:1]
	v_mul_f64 v[36:37], v[0:1], s[0:1]
	v_add_u32_e32 v39, s2, v39
	global_store_dwordx4 v[38:39], v[34:37], off
	scratch_load_dwordx4 v[34:37], off, off offset:256 ; 16-byte Folded Reload
	v_mad_u64_u32 v[38:39], s[6:7], s4, v40, v[38:39]
	scratch_load_dwordx4 v[42:45], off, off offset:208 ; 16-byte Folded Reload
	v_add_u32_e32 v39, s2, v39
	s_waitcnt vmcnt(1)
	v_mul_f64 v[0:1], v[36:37], v[20:21]
	v_mul_f64 v[2:3], v[36:37], v[18:19]
	v_fmac_f64_e32 v[0:1], v[34:35], v[18:19]
	v_fma_f64 v[2:3], v[34:35], v[20:21], -v[2:3]
	ds_read_b128 v[18:21], v222 offset:4352
	v_mul_f64 v[0:1], v[0:1], s[0:1]
	v_mul_f64 v[2:3], v[2:3], s[0:1]
	global_store_dwordx4 v[38:39], v[0:3], off
	ds_read_b128 v[0:3], v222 offset:4624
	s_waitcnt vmcnt(1) lgkmcnt(1)
	v_mul_f64 v[34:35], v[44:45], v[20:21]
	v_fmac_f64_e32 v[34:35], v[42:43], v[18:19]
	v_mul_f64 v[18:19], v[44:45], v[18:19]
	v_fma_f64 v[18:19], v[42:43], v[20:21], -v[18:19]
	v_mad_u64_u32 v[38:39], s[6:7], s4, v40, v[38:39]
	v_mul_f64 v[34:35], v[34:35], s[0:1]
	v_mul_f64 v[36:37], v[18:19], s[0:1]
	v_add_u32_e32 v39, s2, v39
	global_store_dwordx4 v[38:39], v[34:37], off
	scratch_load_dwordx4 v[34:37], off, off offset:160 ; 16-byte Folded Reload
	v_mad_u64_u32 v[38:39], s[6:7], s4, v40, v[38:39]
	scratch_load_dwordx4 v[42:45], off, off offset:128 ; 16-byte Folded Reload
	v_add_u32_e32 v39, s2, v39
	s_waitcnt vmcnt(1)
	v_mul_f64 v[18:19], v[36:37], v[28:29]
	v_mul_f64 v[20:21], v[36:37], v[26:27]
	v_fmac_f64_e32 v[18:19], v[34:35], v[26:27]
	v_fma_f64 v[20:21], v[34:35], v[28:29], -v[20:21]
	ds_read_b128 v[26:29], v222 offset:7072
	v_mul_f64 v[18:19], v[18:19], s[0:1]
	v_mul_f64 v[20:21], v[20:21], s[0:1]
	global_store_dwordx4 v[38:39], v[18:21], off
	ds_read_b128 v[18:21], v222 offset:7344
	s_waitcnt vmcnt(1) lgkmcnt(1)
	v_mul_f64 v[34:35], v[44:45], v[28:29]
	v_fmac_f64_e32 v[34:35], v[42:43], v[26:27]
	v_mul_f64 v[26:27], v[44:45], v[26:27]
	v_fma_f64 v[26:27], v[42:43], v[28:29], -v[26:27]
	v_mad_u64_u32 v[38:39], s[6:7], s4, v40, v[38:39]
	;; [unrolled: 24-line block ×3, first 2 shown]
	v_mul_f64 v[34:35], v[34:35], s[0:1]
	v_mul_f64 v[36:37], v[30:31], s[0:1]
	v_add_u32_e32 v39, s3, v39
	global_store_dwordx4 v[38:39], v[34:37], off
	scratch_load_dwordx4 v[32:35], off, off offset:52 ; 16-byte Folded Reload
	v_mad_u64_u32 v[38:39], s[6:7], s4, v40, v[38:39]
	scratch_load_dwordx4 v[42:45], off, off offset:20 ; 16-byte Folded Reload
	v_add_u32_e32 v39, s2, v39
	s_waitcnt vmcnt(1)
	v_mul_f64 v[30:31], v[34:35], v[24:25]
	v_fmac_f64_e32 v[30:31], v[32:33], v[22:23]
	v_mul_f64 v[22:23], v[34:35], v[22:23]
	v_fma_f64 v[22:23], v[32:33], v[24:25], -v[22:23]
	v_mul_f64 v[32:33], v[22:23], s[0:1]
	ds_read_b128 v[22:25], v222 offset:3264
	v_mul_f64 v[30:31], v[30:31], s[0:1]
	global_store_dwordx4 v[38:39], v[30:33], off
	ds_read_b128 v[30:33], v222 offset:3536
	v_mad_u64_u32 v[38:39], s[6:7], s4, v40, v[38:39]
	s_waitcnt vmcnt(1) lgkmcnt(1)
	v_mul_f64 v[34:35], v[44:45], v[24:25]
	v_fmac_f64_e32 v[34:35], v[42:43], v[22:23]
	v_mul_f64 v[22:23], v[44:45], v[22:23]
	v_fma_f64 v[22:23], v[42:43], v[24:25], -v[22:23]
	v_mul_f64 v[34:35], v[34:35], s[0:1]
	v_mul_f64 v[36:37], v[22:23], s[0:1]
	v_add_u32_e32 v39, s2, v39
	global_store_dwordx4 v[38:39], v[34:37], off
	scratch_load_dwordx4 v[34:37], off, off offset:320 ; 16-byte Folded Reload
	v_mad_u64_u32 v[38:39], s[6:7], s4, v40, v[38:39]
	scratch_load_dwordx4 v[42:45], off, off offset:544 ; 16-byte Folded Reload
	v_add_u32_e32 v39, s2, v39
	s_waitcnt vmcnt(1)
	v_mul_f64 v[22:23], v[36:37], v[2:3]
	v_fmac_f64_e32 v[22:23], v[34:35], v[0:1]
	v_mul_f64 v[0:1], v[36:37], v[0:1]
	v_fma_f64 v[0:1], v[34:35], v[2:3], -v[0:1]
	v_mul_f64 v[24:25], v[0:1], s[0:1]
	ds_read_b128 v[0:3], v222 offset:5984
	v_mul_f64 v[22:23], v[22:23], s[0:1]
	global_store_dwordx4 v[38:39], v[22:25], off
	ds_read_b128 v[22:25], v222 offset:6256
	v_mad_u64_u32 v[38:39], s[6:7], s4, v40, v[38:39]
	s_waitcnt vmcnt(1) lgkmcnt(1)
	v_mul_f64 v[34:35], v[44:45], v[2:3]
	v_fmac_f64_e32 v[34:35], v[42:43], v[0:1]
	v_mul_f64 v[0:1], v[44:45], v[0:1]
	v_fma_f64 v[0:1], v[42:43], v[2:3], -v[0:1]
	v_mul_f64 v[34:35], v[34:35], s[0:1]
	v_mul_f64 v[36:37], v[0:1], s[0:1]
	v_add_u32_e32 v39, s2, v39
	global_store_dwordx4 v[38:39], v[34:37], off
	scratch_load_dwordx4 v[34:37], off, off offset:528 ; 16-byte Folded Reload
	v_mad_u64_u32 v[38:39], s[6:7], s4, v40, v[38:39]
	scratch_load_dwordx4 v[42:45], off, off offset:512 ; 16-byte Folded Reload
	v_add_u32_e32 v39, s2, v39
	s_waitcnt vmcnt(1)
	v_mul_f64 v[0:1], v[36:37], v[20:21]
	v_mul_f64 v[2:3], v[36:37], v[18:19]
	v_fmac_f64_e32 v[0:1], v[34:35], v[18:19]
	v_fma_f64 v[2:3], v[34:35], v[20:21], -v[2:3]
	ds_read_b128 v[18:21], v222 offset:8704
	v_mul_f64 v[0:1], v[0:1], s[0:1]
	v_mul_f64 v[2:3], v[2:3], s[0:1]
	global_store_dwordx4 v[38:39], v[0:3], off
	ds_read_b128 v[0:3], v222 offset:8976
	s_waitcnt vmcnt(1) lgkmcnt(1)
	v_mul_f64 v[34:35], v[44:45], v[20:21]
	v_fmac_f64_e32 v[34:35], v[42:43], v[18:19]
	v_mul_f64 v[18:19], v[44:45], v[18:19]
	v_fma_f64 v[18:19], v[42:43], v[20:21], -v[18:19]
	scratch_load_dword v21, off, off        ; 4-byte Folded Reload
	v_mul_f64 v[36:37], v[18:19], s[0:1]
	v_mul_f64 v[34:35], v[34:35], s[0:1]
	s_waitcnt vmcnt(0)
	v_mad_u64_u32 v[18:19], s[6:7], s4, v21, 0
	v_mov_b32_e32 v20, v19
	v_mad_u64_u32 v[20:21], s[6:7], s5, v21, v[20:21]
	v_mov_b32_e32 v19, v20
	v_lshl_add_u64 v[16:17], v[18:19], 4, v[16:17]
	global_store_dwordx4 v[16:17], v[34:37], off
	scratch_load_dwordx4 v[34:37], off, off offset:496 ; 16-byte Folded Reload
	v_mov_b32_e32 v20, 0xffffe680
	v_mad_u64_u32 v[20:21], s[6:7], s4, v20, v[38:39]
	s_mulk_i32 s5, 0xe680
	s_sub_i32 s5, s5, s4
	v_add_u32_e32 v21, s5, v21
	s_waitcnt vmcnt(0)
	v_mul_f64 v[16:17], v[36:37], v[28:29]
	v_mul_f64 v[18:19], v[36:37], v[26:27]
	scratch_load_dwordx4 v[36:39], off, off offset:480 ; 16-byte Folded Reload
	v_fmac_f64_e32 v[16:17], v[34:35], v[26:27]
	v_fma_f64 v[18:19], v[34:35], v[28:29], -v[18:19]
	ds_read_b128 v[26:29], v222 offset:2176
	v_mul_f64 v[16:17], v[16:17], s[0:1]
	v_mul_f64 v[18:19], v[18:19], s[0:1]
	global_store_dwordx4 v[20:21], v[16:19], off
	ds_read_b128 v[16:19], v222 offset:2448
	v_mad_u64_u32 v[20:21], s[6:7], s4, v40, v[20:21]
	v_add_u32_e32 v21, s2, v21
	s_waitcnt vmcnt(1) lgkmcnt(1)
	v_mul_f64 v[34:35], v[38:39], v[28:29]
	v_fmac_f64_e32 v[34:35], v[36:37], v[26:27]
	v_mul_f64 v[26:27], v[38:39], v[26:27]
	v_fma_f64 v[26:27], v[36:37], v[28:29], -v[26:27]
	v_mul_f64 v[34:35], v[34:35], s[0:1]
	v_mul_f64 v[36:37], v[26:27], s[0:1]
	global_store_dwordx4 v[20:21], v[34:37], off
	scratch_load_dwordx4 v[34:37], off, off offset:464 ; 16-byte Folded Reload
	v_mad_u64_u32 v[20:21], s[6:7], s4, v40, v[20:21]
	v_add_u32_e32 v21, s2, v21
	s_waitcnt vmcnt(0)
	v_mul_f64 v[26:27], v[36:37], v[32:33]
	v_mul_f64 v[28:29], v[36:37], v[30:31]
	scratch_load_dwordx4 v[36:39], off, off offset:448 ; 16-byte Folded Reload
	v_fmac_f64_e32 v[26:27], v[34:35], v[30:31]
	v_fma_f64 v[28:29], v[34:35], v[32:33], -v[28:29]
	ds_read_b128 v[30:33], v222 offset:4896
	v_mul_f64 v[26:27], v[26:27], s[0:1]
	v_mul_f64 v[28:29], v[28:29], s[0:1]
	global_store_dwordx4 v[20:21], v[26:29], off
	ds_read_b128 v[26:29], v222 offset:5168
	s_waitcnt vmcnt(1) lgkmcnt(1)
	v_mul_f64 v[34:35], v[38:39], v[32:33]
	v_fmac_f64_e32 v[34:35], v[36:37], v[30:31]
	v_mul_f64 v[30:31], v[38:39], v[30:31]
	v_fma_f64 v[30:31], v[36:37], v[32:33], -v[30:31]
	v_mul_f64 v[36:37], v[30:31], s[0:1]
	scratch_load_dwordx4 v[30:33], off, off offset:432 ; 16-byte Folded Reload
	v_mad_u64_u32 v[38:39], s[6:7], s4, v40, v[20:21]
	v_mul_f64 v[34:35], v[34:35], s[0:1]
	v_add_u32_e32 v39, s2, v39
	global_store_dwordx4 v[38:39], v[34:37], off
	s_waitcnt vmcnt(1)
	v_mul_f64 v[20:21], v[32:33], v[24:25]
	v_fmac_f64_e32 v[20:21], v[30:31], v[22:23]
	v_mul_f64 v[22:23], v[32:33], v[22:23]
	v_fma_f64 v[22:23], v[30:31], v[24:25], -v[22:23]
	v_mad_u64_u32 v[24:25], s[6:7], s4, v40, v[38:39]
	scratch_load_dwordx4 v[36:39], off, off offset:304 ; 16-byte Folded Reload
	ds_read_b128 v[30:33], v222 offset:7616
	v_mul_f64 v[20:21], v[20:21], s[0:1]
	v_mul_f64 v[22:23], v[22:23], s[0:1]
	v_add_u32_e32 v25, s2, v25
	global_store_dwordx4 v[24:25], v[20:23], off
	ds_read_b128 v[20:23], v222 offset:7888
	v_mad_u64_u32 v[24:25], s[6:7], s4, v40, v[24:25]
	v_add_u32_e32 v25, s2, v25
	s_waitcnt vmcnt(1) lgkmcnt(1)
	v_mul_f64 v[34:35], v[38:39], v[32:33]
	v_fmac_f64_e32 v[34:35], v[36:37], v[30:31]
	v_mul_f64 v[30:31], v[38:39], v[30:31]
	v_fma_f64 v[30:31], v[36:37], v[32:33], -v[30:31]
	v_mul_f64 v[34:35], v[34:35], s[0:1]
	v_mul_f64 v[36:37], v[30:31], s[0:1]
	global_store_dwordx4 v[24:25], v[34:37], off
	scratch_load_dwordx4 v[32:35], off, off offset:272 ; 16-byte Folded Reload
	v_mad_u64_u32 v[24:25], s[6:7], s4, v40, v[24:25]
	v_add_u32_e32 v25, s2, v25
	s_waitcnt vmcnt(0)
	v_mul_f64 v[30:31], v[34:35], v[2:3]
	v_fmac_f64_e32 v[30:31], v[32:33], v[0:1]
	v_mul_f64 v[0:1], v[34:35], v[0:1]
	v_fma_f64 v[0:1], v[32:33], v[2:3], -v[0:1]
	v_mul_f64 v[30:31], v[30:31], s[0:1]
	v_mul_f64 v[32:33], v[0:1], s[0:1]
	global_store_dwordx4 v[24:25], v[30:33], off
	scratch_load_dwordx4 v[30:33], off, off offset:240 ; 16-byte Folded Reload
	s_waitcnt vmcnt(0)
	v_mul_f64 v[0:1], v[32:33], v[10:11]
	v_mul_f64 v[2:3], v[32:33], v[8:9]
	v_fmac_f64_e32 v[0:1], v[30:31], v[8:9]
	v_fma_f64 v[2:3], v[30:31], v[10:11], -v[2:3]
	scratch_load_dwordx4 v[30:33], off, off offset:224 ; 16-byte Folded Reload
	v_mad_u64_u32 v[8:9], s[6:7], s4, v41, v[24:25]
	v_mul_f64 v[0:1], v[0:1], s[0:1]
	v_mul_f64 v[2:3], v[2:3], s[0:1]
	v_add_u32_e32 v9, s3, v9
	global_store_dwordx4 v[8:9], v[0:3], off
	v_mad_u64_u32 v[8:9], s[6:7], s4, v40, v[8:9]
	v_add_u32_e32 v9, s2, v9
	s_waitcnt vmcnt(1)
	v_mul_f64 v[0:1], v[32:33], v[18:19]
	v_mul_f64 v[2:3], v[32:33], v[16:17]
	v_fmac_f64_e32 v[0:1], v[30:31], v[16:17]
	v_fma_f64 v[2:3], v[30:31], v[18:19], -v[2:3]
	scratch_load_dwordx4 v[16:19], off, off offset:176 ; 16-byte Folded Reload
	v_mul_f64 v[0:1], v[0:1], s[0:1]
	v_mul_f64 v[2:3], v[2:3], s[0:1]
	global_store_dwordx4 v[8:9], v[0:3], off
	s_waitcnt vmcnt(1)
	s_nop 0
	v_mul_f64 v[0:1], v[18:19], v[6:7]
	v_mul_f64 v[2:3], v[18:19], v[4:5]
	v_fmac_f64_e32 v[0:1], v[16:17], v[4:5]
	v_fma_f64 v[2:3], v[16:17], v[6:7], -v[2:3]
	v_mad_u64_u32 v[4:5], s[6:7], s4, v40, v[8:9]
	scratch_load_dwordx4 v[6:9], off, off offset:144 ; 16-byte Folded Reload
	v_mul_f64 v[0:1], v[0:1], s[0:1]
	v_mul_f64 v[2:3], v[2:3], s[0:1]
	v_add_u32_e32 v5, s2, v5
	global_store_dwordx4 v[4:5], v[0:3], off
	v_mad_u64_u32 v[4:5], s[6:7], s4, v40, v[4:5]
	v_add_u32_e32 v5, s2, v5
	s_waitcnt vmcnt(1)
	v_mul_f64 v[0:1], v[8:9], v[28:29]
	v_mul_f64 v[2:3], v[8:9], v[26:27]
	v_fmac_f64_e32 v[0:1], v[6:7], v[26:27]
	v_fma_f64 v[2:3], v[6:7], v[28:29], -v[2:3]
	scratch_load_dwordx4 v[6:9], off, off offset:112 ; 16-byte Folded Reload
	v_mul_f64 v[0:1], v[0:1], s[0:1]
	v_mul_f64 v[2:3], v[2:3], s[0:1]
	global_store_dwordx4 v[4:5], v[0:3], off
	s_waitcnt vmcnt(1)
	s_nop 0
	v_mul_f64 v[0:1], v[8:9], v[14:15]
	v_mul_f64 v[2:3], v[8:9], v[12:13]
	v_fmac_f64_e32 v[0:1], v[6:7], v[12:13]
	v_fma_f64 v[2:3], v[6:7], v[14:15], -v[2:3]
	v_mad_u64_u32 v[8:9], s[6:7], s4, v40, v[4:5]
	scratch_load_dwordx4 v[4:7], off, off offset:36 ; 16-byte Folded Reload
	scratch_load_dwordx4 v[10:13], off, off offset:4 ; 16-byte Folded Reload
	v_mul_f64 v[0:1], v[0:1], s[0:1]
	v_mul_f64 v[2:3], v[2:3], s[0:1]
	v_add_u32_e32 v9, s2, v9
	global_store_dwordx4 v[8:9], v[0:3], off
	v_mad_u64_u32 v[8:9], s[6:7], s4, v40, v[8:9]
	v_add_u32_e32 v9, s2, v9
	s_waitcnt vmcnt(2) lgkmcnt(0)
	v_mul_f64 v[0:1], v[6:7], v[22:23]
	v_mul_f64 v[2:3], v[6:7], v[20:21]
	v_fmac_f64_e32 v[0:1], v[4:5], v[20:21]
	v_fma_f64 v[2:3], v[4:5], v[22:23], -v[2:3]
	ds_read_b128 v[4:7], v222 offset:9248
	v_mul_f64 v[0:1], v[0:1], s[0:1]
	v_mul_f64 v[2:3], v[2:3], s[0:1]
	global_store_dwordx4 v[8:9], v[0:3], off
	s_waitcnt vmcnt(2) lgkmcnt(0)
	s_nop 0
	v_mul_f64 v[0:1], v[12:13], v[6:7]
	v_mul_f64 v[2:3], v[12:13], v[4:5]
	v_fmac_f64_e32 v[0:1], v[10:11], v[4:5]
	v_fma_f64 v[2:3], v[10:11], v[6:7], -v[2:3]
	v_mul_f64 v[0:1], v[0:1], s[0:1]
	v_mul_f64 v[2:3], v[2:3], s[0:1]
	v_mad_u64_u32 v[4:5], s[0:1], s4, v40, v[8:9]
	v_add_u32_e32 v5, s2, v5
	global_store_dwordx4 v[4:5], v[0:3], off
.LBB0_10:
	s_endpgm
	.section	.rodata,"a",@progbits
	.p2align	6, 0x0
	.amdhsa_kernel bluestein_single_fwd_len595_dim1_dp_op_CI_CI
		.amdhsa_group_segment_fixed_size 28560
		.amdhsa_private_segment_fixed_size 916
		.amdhsa_kernarg_size 104
		.amdhsa_user_sgpr_count 2
		.amdhsa_user_sgpr_dispatch_ptr 0
		.amdhsa_user_sgpr_queue_ptr 0
		.amdhsa_user_sgpr_kernarg_segment_ptr 1
		.amdhsa_user_sgpr_dispatch_id 0
		.amdhsa_user_sgpr_kernarg_preload_length 0
		.amdhsa_user_sgpr_kernarg_preload_offset 0
		.amdhsa_user_sgpr_private_segment_size 0
		.amdhsa_uses_dynamic_stack 0
		.amdhsa_enable_private_segment 1
		.amdhsa_system_sgpr_workgroup_id_x 1
		.amdhsa_system_sgpr_workgroup_id_y 0
		.amdhsa_system_sgpr_workgroup_id_z 0
		.amdhsa_system_sgpr_workgroup_info 0
		.amdhsa_system_vgpr_workitem_id 0
		.amdhsa_next_free_vgpr 512
		.amdhsa_next_free_sgpr 60
		.amdhsa_accum_offset 256
		.amdhsa_reserve_vcc 1
		.amdhsa_float_round_mode_32 0
		.amdhsa_float_round_mode_16_64 0
		.amdhsa_float_denorm_mode_32 3
		.amdhsa_float_denorm_mode_16_64 3
		.amdhsa_dx10_clamp 1
		.amdhsa_ieee_mode 1
		.amdhsa_fp16_overflow 0
		.amdhsa_tg_split 0
		.amdhsa_exception_fp_ieee_invalid_op 0
		.amdhsa_exception_fp_denorm_src 0
		.amdhsa_exception_fp_ieee_div_zero 0
		.amdhsa_exception_fp_ieee_overflow 0
		.amdhsa_exception_fp_ieee_underflow 0
		.amdhsa_exception_fp_ieee_inexact 0
		.amdhsa_exception_int_div_zero 0
	.end_amdhsa_kernel
	.text
.Lfunc_end0:
	.size	bluestein_single_fwd_len595_dim1_dp_op_CI_CI, .Lfunc_end0-bluestein_single_fwd_len595_dim1_dp_op_CI_CI
                                        ; -- End function
	.section	.AMDGPU.csdata,"",@progbits
; Kernel info:
; codeLenInByte = 68064
; NumSgprs: 66
; NumVgprs: 256
; NumAgprs: 256
; TotalNumVgprs: 512
; ScratchSize: 916
; MemoryBound: 0
; FloatMode: 240
; IeeeMode: 1
; LDSByteSize: 28560 bytes/workgroup (compile time only)
; SGPRBlocks: 8
; VGPRBlocks: 63
; NumSGPRsForWavesPerEU: 66
; NumVGPRsForWavesPerEU: 512
; AccumOffset: 256
; Occupancy: 1
; WaveLimiterHint : 1
; COMPUTE_PGM_RSRC2:SCRATCH_EN: 1
; COMPUTE_PGM_RSRC2:USER_SGPR: 2
; COMPUTE_PGM_RSRC2:TRAP_HANDLER: 0
; COMPUTE_PGM_RSRC2:TGID_X_EN: 1
; COMPUTE_PGM_RSRC2:TGID_Y_EN: 0
; COMPUTE_PGM_RSRC2:TGID_Z_EN: 0
; COMPUTE_PGM_RSRC2:TIDIG_COMP_CNT: 0
; COMPUTE_PGM_RSRC3_GFX90A:ACCUM_OFFSET: 63
; COMPUTE_PGM_RSRC3_GFX90A:TG_SPLIT: 0
	.text
	.p2alignl 6, 3212836864
	.fill 256, 4, 3212836864
	.type	__hip_cuid_d5c03cc2ed8b4d9,@object ; @__hip_cuid_d5c03cc2ed8b4d9
	.section	.bss,"aw",@nobits
	.globl	__hip_cuid_d5c03cc2ed8b4d9
__hip_cuid_d5c03cc2ed8b4d9:
	.byte	0                               ; 0x0
	.size	__hip_cuid_d5c03cc2ed8b4d9, 1

	.ident	"AMD clang version 19.0.0git (https://github.com/RadeonOpenCompute/llvm-project roc-6.4.0 25133 c7fe45cf4b819c5991fe208aaa96edf142730f1d)"
	.section	".note.GNU-stack","",@progbits
	.addrsig
	.addrsig_sym __hip_cuid_d5c03cc2ed8b4d9
	.amdgpu_metadata
---
amdhsa.kernels:
  - .agpr_count:     256
    .args:
      - .actual_access:  read_only
        .address_space:  global
        .offset:         0
        .size:           8
        .value_kind:     global_buffer
      - .actual_access:  read_only
        .address_space:  global
        .offset:         8
        .size:           8
        .value_kind:     global_buffer
      - .actual_access:  read_only
        .address_space:  global
        .offset:         16
        .size:           8
        .value_kind:     global_buffer
      - .actual_access:  read_only
        .address_space:  global
        .offset:         24
        .size:           8
        .value_kind:     global_buffer
      - .actual_access:  read_only
        .address_space:  global
        .offset:         32
        .size:           8
        .value_kind:     global_buffer
      - .offset:         40
        .size:           8
        .value_kind:     by_value
      - .address_space:  global
        .offset:         48
        .size:           8
        .value_kind:     global_buffer
      - .address_space:  global
        .offset:         56
        .size:           8
        .value_kind:     global_buffer
      - .address_space:  global
        .offset:         64
        .size:           8
        .value_kind:     global_buffer
      - .address_space:  global
        .offset:         72
        .size:           8
        .value_kind:     global_buffer
      - .offset:         80
        .size:           4
        .value_kind:     by_value
      - .address_space:  global
        .offset:         88
        .size:           8
        .value_kind:     global_buffer
      - .address_space:  global
        .offset:         96
        .size:           8
        .value_kind:     global_buffer
    .group_segment_fixed_size: 28560
    .kernarg_segment_align: 8
    .kernarg_segment_size: 104
    .language:       OpenCL C
    .language_version:
      - 2
      - 0
    .max_flat_workgroup_size: 51
    .name:           bluestein_single_fwd_len595_dim1_dp_op_CI_CI
    .private_segment_fixed_size: 916
    .sgpr_count:     66
    .sgpr_spill_count: 0
    .symbol:         bluestein_single_fwd_len595_dim1_dp_op_CI_CI.kd
    .uniform_work_group_size: 1
    .uses_dynamic_stack: false
    .vgpr_count:     512
    .vgpr_spill_count: 228
    .wavefront_size: 64
amdhsa.target:   amdgcn-amd-amdhsa--gfx950
amdhsa.version:
  - 1
  - 2
...

	.end_amdgpu_metadata
